;; amdgpu-corpus repo=ROCm/rocFFT kind=compiled arch=gfx1100 opt=O3
	.text
	.amdgcn_target "amdgcn-amd-amdhsa--gfx1100"
	.amdhsa_code_object_version 6
	.protected	bluestein_single_fwd_len2700_dim1_half_op_CI_CI ; -- Begin function bluestein_single_fwd_len2700_dim1_half_op_CI_CI
	.globl	bluestein_single_fwd_len2700_dim1_half_op_CI_CI
	.p2align	8
	.type	bluestein_single_fwd_len2700_dim1_half_op_CI_CI,@function
bluestein_single_fwd_len2700_dim1_half_op_CI_CI: ; @bluestein_single_fwd_len2700_dim1_half_op_CI_CI
; %bb.0:
	s_load_b128 s[16:19], s[0:1], 0x28
	v_mul_u32_u24_e32 v1, 0x2d9, v0
	s_mov_b32 s2, exec_lo
	v_mov_b32_e32 v3, 0
	s_delay_alu instid0(VALU_DEP_2) | instskip(NEXT) | instid1(VALU_DEP_1)
	v_lshrrev_b32_e32 v1, 16, v1
	v_add_nc_u32_e32 v2, s15, v1
	s_waitcnt lgkmcnt(0)
	s_delay_alu instid0(VALU_DEP_1)
	v_cmpx_gt_u64_e64 s[16:17], v[2:3]
	s_cbranch_execz .LBB0_2
; %bb.1:
	s_clause 0x1
	s_load_b128 s[8:11], s[0:1], 0x18
	s_load_b128 s[4:7], s[0:1], 0x0
	v_mul_lo_u16 v1, 0x5a, v1
	s_load_b64 s[0:1], s[0:1], 0x38
	v_mov_b32_e32 v6, v2
	s_delay_alu instid0(VALU_DEP_2) | instskip(SKIP_2) | instid1(VALU_DEP_1)
	v_sub_nc_u16 v74, v0, v1
	scratch_store_b64 off, v[6:7], off offset:204 ; 8-byte Folded Spill
	v_and_b32_e32 v159, 0xffff, v74
	v_add_co_u32 v96, null, 0x5a, v159
	v_add_co_u32 v93, null, 0xb4, v159
	s_waitcnt lgkmcnt(0)
	s_load_b128 s[12:15], s[8:9], 0x0
	v_add_co_u32 v233, null, 0x21c, v159
	v_add_co_u32 v216, null, 0x276, v159
	;; [unrolled: 1-line block ×4, first 2 shown]
	s_waitcnt lgkmcnt(0)
	v_mad_u64_u32 v[0:1], null, s14, v2, 0
	v_mad_u64_u32 v[2:3], null, s12, v159, 0
	s_mul_hi_u32 s8, s12, 0xe10
	s_mul_i32 s3, s12, 0xe10
	s_mul_i32 s9, s12, 0xffffe548
	s_delay_alu instid0(VALU_DEP_1) | instskip(NEXT) | instid1(VALU_DEP_1)
	v_mad_u64_u32 v[4:5], null, s15, v6, v[1:2]
	v_dual_mov_b32 v1, v4 :: v_dual_lshlrev_b32 v190, 2, v159
	s_delay_alu instid0(VALU_DEP_3) | instskip(NEXT) | instid1(VALU_DEP_2)
	v_mad_u64_u32 v[5:6], null, s13, v159, v[3:4]
	v_add_co_u32 v170, s2, s4, v190
	s_delay_alu instid0(VALU_DEP_3) | instskip(SKIP_2) | instid1(VALU_DEP_4)
	v_lshlrev_b64 v[0:1], 2, v[0:1]
	v_add_co_ci_u32_e64 v171, null, s5, 0, s2
	s_mul_i32 s2, s13, 0xe10
	v_mov_b32_e32 v3, v5
	s_add_i32 s2, s8, s2
	s_delay_alu instid0(VALU_DEP_3) | instskip(SKIP_1) | instid1(VALU_DEP_3)
	v_add_co_u32 v4, vcc_lo, s18, v0
	v_add_co_ci_u32_e32 v5, vcc_lo, s19, v1, vcc_lo
	v_lshlrev_b64 v[2:3], 2, v[2:3]
	v_add_co_u32 v0, vcc_lo, 0x1000, v170
	v_add_co_ci_u32_e32 v1, vcc_lo, 0, v171, vcc_lo
	global_load_b32 v31, v190, s[4:5]
	v_add_co_u32 v2, vcc_lo, v4, v2
	v_add_co_ci_u32_e32 v3, vcc_lo, v5, v3, vcc_lo
	s_mul_hi_u32 s8, s12, 0xffffe548
	s_mulk_i32 s13, 0xe548
	s_sub_i32 s8, s8, s12
	global_load_b32 v10, v[2:3], off
	v_add_co_u32 v2, vcc_lo, v2, s3
	v_add_co_ci_u32_e32 v3, vcc_lo, s2, v3, vcc_lo
	s_clause 0x1
	global_load_b32 v23, v190, s[4:5] offset:3600
	global_load_b32 v21, v[0:1], off offset:3104
	global_load_b32 v11, v[2:3], off
	v_add_co_u32 v2, vcc_lo, v2, s3
	v_add_co_ci_u32_e32 v3, vcc_lo, s2, v3, vcc_lo
	s_add_i32 s8, s8, s13
	v_add_nc_u32_e32 v163, 0x1c00, v190
	v_add_nc_u32_e32 v255, 0x200, v190
	global_load_b32 v13, v[2:3], off
	v_add_co_u32 v2, vcc_lo, v2, s9
	v_add_co_ci_u32_e32 v3, vcc_lo, s8, v3, vcc_lo
	global_load_b32 v24, v190, s[4:5] offset:360
	global_load_b32 v12, v[2:3], off
	v_add_co_u32 v2, vcc_lo, v2, s3
	v_add_co_ci_u32_e32 v3, vcc_lo, s2, v3, vcc_lo
	global_load_b32 v33, v190, s[4:5] offset:3960
	global_load_b32 v8, v[2:3], off
	v_add_co_u32 v4, vcc_lo, v2, s3
	v_add_co_ci_u32_e32 v5, vcc_lo, s2, v3, vcc_lo
	v_add_nc_u32_e32 v128, 0x1000, v190
	s_delay_alu instid0(VALU_DEP_3) | instskip(NEXT) | instid1(VALU_DEP_3)
	v_add_co_u32 v2, vcc_lo, v4, s9
	v_add_co_ci_u32_e32 v3, vcc_lo, s8, v5, vcc_lo
	v_add_nc_u32_e32 v251, 0x2000, v190
	s_delay_alu instid0(VALU_DEP_3) | instskip(NEXT) | instid1(VALU_DEP_3)
	v_add_co_u32 v14, vcc_lo, v2, s3
	v_add_co_ci_u32_e32 v15, vcc_lo, s2, v3, vcc_lo
	global_load_b32 v28, v[0:1], off offset:224
	global_load_b32 v9, v[14:15], off
	global_load_b32 v32, v[0:1], off offset:3464
	global_load_b32 v7, v[4:5], off
	v_add_co_u32 v4, vcc_lo, v14, s3
	v_add_co_ci_u32_e32 v5, vcc_lo, s2, v15, vcc_lo
	global_load_b32 v27, v[0:1], off offset:3824
	global_load_b32 v6, v[4:5], off
	s_clause 0x6
	global_load_b32 v30, v190, s[4:5] offset:720
	global_load_b32 v29, v190, s[4:5] offset:1080
	;; [unrolled: 1-line block ×7, first 2 shown]
	v_add_co_u32 v4, vcc_lo, v4, s9
	v_add_co_ci_u32_e32 v5, vcc_lo, s8, v5, vcc_lo
	v_add_nc_u32_e32 v241, 0x1400, v190
	v_add_nc_u32_e32 v242, 0x800, v190
	;; [unrolled: 1-line block ×4, first 2 shown]
	s_waitcnt vmcnt(22)
	v_lshrrev_b32_e32 v17, 16, v31
	scratch_store_b32 off, v17, off offset:240 ; 4-byte Folded Spill
	s_waitcnt vmcnt(21)
	v_lshrrev_b32_e32 v14, 16, v10
	v_mul_f16_e32 v15, v17, v10
	s_waitcnt vmcnt(20)
	v_lshrrev_b32_e32 v35, 16, v23
	s_delay_alu instid0(VALU_DEP_3)
	v_mul_f16_e32 v16, v17, v14
	s_waitcnt vmcnt(18)
	v_lshrrev_b32_e32 v17, 16, v11
	v_lshrrev_b32_e32 v34, 16, v21
	v_fma_f16 v14, v31, v14, -v15
	v_mul_f16_e32 v18, v35, v11
	v_fmac_f16_e32 v16, v31, v10
	v_mul_f16_e32 v10, v35, v17
	s_clause 0x1
	scratch_store_b32 off, v21, off offset:220
	scratch_store_b32 off, v34, off offset:216
	s_waitcnt vmcnt(17)
	v_lshrrev_b32_e32 v15, 16, v13
	v_fma_f16 v17, v23, v17, -v18
	v_mul_f16_e32 v18, v34, v13
	v_fmac_f16_e32 v10, v23, v11
	s_delay_alu instid0(VALU_DEP_4) | instskip(NEXT) | instid1(VALU_DEP_3)
	v_mul_f16_e32 v11, v34, v15
	v_fma_f16 v15, v21, v15, -v18
	s_waitcnt vmcnt(16)
	v_lshrrev_b32_e32 v18, 16, v24
	scratch_store_b32 off, v24, off offset:224 ; 4-byte Folded Spill
	v_fmac_f16_e32 v11, v21, v13
	s_waitcnt vmcnt(15)
	v_lshrrev_b32_e32 v13, 16, v12
	v_pack_b32_f16 v10, v10, v17
	scratch_store_b32 off, v18, off offset:228 ; 4-byte Folded Spill
	v_mul_f16_e32 v17, v18, v12
	v_pack_b32_f16 v11, v11, v15
	s_clause 0x2
	scratch_store_b32 off, v31, off offset:244
	scratch_store_b32 off, v23, off offset:236
	;; [unrolled: 1-line block ×3, first 2 shown]
	v_fma_f16 v17, v24, v13, -v17
	v_mul_f16_e32 v13, v18, v13
	s_delay_alu instid0(VALU_DEP_1)
	v_fmac_f16_e32 v13, v24, v12
	s_clause 0x6
	global_load_b32 v31, v[0:1], off offset:584
	global_load_b32 v23, v[0:1], off offset:944
	;; [unrolled: 1-line block ×7, first 2 shown]
	v_pack_b32_f16 v0, v16, v14
	ds_store_b32 v190, v10 offset:3600
	ds_store_b32 v190, v11 offset:7200
	s_waitcnt vmcnt(21)
	v_lshrrev_b32_e32 v10, 16, v33
	v_pack_b32_f16 v1, v13, v17
	s_waitcnt vmcnt(19)
	v_lshrrev_b32_e32 v11, 16, v28
	global_load_b32 v2, v[2:3], off
	s_waitcnt vmcnt(18)
	v_lshrrev_b32_e32 v3, 16, v32
	scratch_store_b32 off, v10, off offset:212 ; 4-byte Folded Spill
	ds_store_2addr_b32 v190, v0, v1 offset1:90
	v_lshrrev_b32_e32 v0, 16, v8
	v_mul_f16_e32 v1, v10, v8
	scratch_store_b32 off, v3, off offset:196 ; 4-byte Folded Spill
	s_waitcnt vmcnt(14)
	scratch_store_b32 off, v30, off offset:184 ; 4-byte Folded Spill
	s_waitcnt vmcnt(13)
	scratch_store_b32 off, v29, off offset:168 ; 4-byte Folded Spill
	v_fma_f16 v1, v33, v0, -v1
	v_mul_f16_e32 v0, v10, v0
	v_mul_f16_e32 v10, v11, v9
	s_delay_alu instid0(VALU_DEP_2) | instskip(SKIP_1) | instid1(VALU_DEP_2)
	v_fmac_f16_e32 v0, v33, v8
	v_lshrrev_b32_e32 v8, 16, v9
	v_pack_b32_f16 v0, v0, v1
	s_delay_alu instid0(VALU_DEP_2) | instskip(SKIP_1) | instid1(VALU_DEP_1)
	v_fma_f16 v10, v28, v8, -v10
	v_mul_f16_e32 v8, v11, v8
	v_fmac_f16_e32 v8, v28, v9
	s_delay_alu instid0(VALU_DEP_1)
	v_pack_b32_f16 v1, v8, v10
	v_add_nc_u32_e32 v8, 0xe00, v190
	ds_store_2addr_b32 v8, v0, v1 offset0:94 offset1:184
	v_lshrrev_b32_e32 v0, 16, v7
	v_mul_f16_e32 v1, v3, v7
	v_lshrrev_b32_e32 v8, 16, v27
	s_delay_alu instid0(VALU_DEP_2) | instskip(SKIP_2) | instid1(VALU_DEP_2)
	v_fma_f16 v1, v32, v0, -v1
	v_mul_f16_e32 v0, v3, v0
	v_lshrrev_b32_e32 v3, 16, v6
	v_fmac_f16_e32 v0, v32, v7
	v_mul_f16_e32 v7, v8, v6
	s_delay_alu instid0(VALU_DEP_2) | instskip(NEXT) | instid1(VALU_DEP_2)
	v_pack_b32_f16 v0, v0, v1
	v_fma_f16 v7, v27, v3, -v7
	v_mul_f16_e32 v3, v8, v3
	s_delay_alu instid0(VALU_DEP_1) | instskip(SKIP_1) | instid1(VALU_DEP_2)
	v_fmac_f16_e32 v3, v27, v6
	v_lshrrev_b32_e32 v6, 16, v30
	v_pack_b32_f16 v1, v3, v7
	global_load_b32 v3, v[4:5], off
	v_lshrrev_b32_e32 v7, 16, v29
	scratch_store_b32 off, v6, off offset:188 ; 4-byte Folded Spill
	ds_store_2addr_b32 v163, v0, v1 offset0:98 offset1:188
	v_add_co_u32 v0, vcc_lo, v4, s3
	v_add_co_ci_u32_e32 v1, vcc_lo, s2, v5, vcc_lo
	scratch_store_b32 off, v7, off offset:172 ; 4-byte Folded Spill
	s_waitcnt vmcnt(8)
	v_lshrrev_b32_e32 v10, 16, v31
	s_clause 0x3
	scratch_store_b32 off, v8, off offset:164
	scratch_store_b32 off, v11, off offset:180
	;; [unrolled: 1-line block ×4, first 2 shown]
	global_load_b32 v8, v[0:1], off
	s_waitcnt vmcnt(8)
	v_lshrrev_b32_e32 v11, 16, v23
	s_clause 0x1
	scratch_store_b32 off, v10, off offset:156
	scratch_store_b32 off, v23, off offset:128
	v_add_nc_u32_e32 v33, 0x2600, v190
	v_add_nc_u32_e32 v162, 0xa00, v190
	s_waitcnt vmcnt(6)
	v_lshrrev_b32_e32 v17, 16, v21
	s_waitcnt vmcnt(2)
	v_lshrrev_b32_e32 v4, 16, v2
	v_mul_f16_e32 v5, v6, v2
	v_mov_b32_e32 v41, v33
	v_add_nc_u32_e32 v135, 0x400, v190
	s_delay_alu instid0(VALU_DEP_3) | instskip(SKIP_1) | instid1(VALU_DEP_1)
	v_fma_f16 v5, v30, v4, -v5
	v_mul_f16_e32 v4, v6, v4
	v_fmac_f16_e32 v4, v30, v2
	s_waitcnt vmcnt(1)
	v_lshrrev_b32_e32 v2, 16, v3
	v_mul_f16_e32 v6, v7, v3
	s_delay_alu instid0(VALU_DEP_1) | instskip(SKIP_1) | instid1(VALU_DEP_1)
	v_fma_f16 v6, v29, v2, -v6
	v_mul_f16_e32 v2, v7, v2
	v_fmac_f16_e32 v2, v29, v3
	v_pack_b32_f16 v3, v4, v5
	s_delay_alu instid0(VALU_DEP_2) | instskip(SKIP_3) | instid1(VALU_DEP_2)
	v_pack_b32_f16 v2, v2, v6
	ds_store_2addr_b32 v255, v3, v2 offset0:52 offset1:142
	v_add_co_u32 v2, vcc_lo, v0, s3
	v_add_co_ci_u32_e32 v3, vcc_lo, s2, v1, vcc_lo
	v_add_co_u32 v0, vcc_lo, v2, s9
	s_delay_alu instid0(VALU_DEP_2) | instskip(NEXT) | instid1(VALU_DEP_2)
	v_add_co_ci_u32_e32 v1, vcc_lo, s8, v3, vcc_lo
	v_add_co_u32 v4, vcc_lo, v0, s3
	s_delay_alu instid0(VALU_DEP_2) | instskip(NEXT) | instid1(VALU_DEP_2)
	v_add_co_ci_u32_e32 v5, vcc_lo, s2, v1, vcc_lo
	v_add_co_u32 v6, vcc_lo, v4, s3
	global_load_b32 v4, v[4:5], off
	v_add_co_ci_u32_e32 v7, vcc_lo, s2, v5, vcc_lo
	s_waitcnt vmcnt(1)
	v_lshrrev_b32_e32 v5, 16, v8
	v_mul_f16_e32 v9, v10, v8
	s_delay_alu instid0(VALU_DEP_1) | instskip(SKIP_1) | instid1(VALU_DEP_1)
	v_fma_f16 v9, v31, v5, -v9
	v_mul_f16_e32 v5, v10, v5
	v_fmac_f16_e32 v5, v31, v8
	s_waitcnt vmcnt(0)
	v_lshrrev_b32_e32 v8, 16, v4
	v_mul_f16_e32 v10, v11, v4
	s_delay_alu instid0(VALU_DEP_1) | instskip(SKIP_1) | instid1(VALU_DEP_1)
	v_fma_f16 v10, v23, v8, -v10
	v_mul_f16_e32 v8, v11, v8
	v_fmac_f16_e32 v8, v23, v4
	v_pack_b32_f16 v4, v5, v9
	s_delay_alu instid0(VALU_DEP_2)
	v_pack_b32_f16 v5, v8, v10
	ds_store_2addr_b32 v128, v4, v5 offset0:146 offset1:236
	global_load_b32 v4, v[2:3], off
	v_add_co_u32 v2, vcc_lo, v6, s9
	v_add_co_ci_u32_e32 v3, vcc_lo, s8, v7, vcc_lo
	v_add_co_u32 v91, vcc_lo, 0x2000, v170
	v_add_co_ci_u32_e32 v92, vcc_lo, 0, v171, vcc_lo
	global_load_b32 v5, v[6:7], off
	global_load_b32 v9, v[91:92], off offset:88
	s_clause 0x3
	scratch_store_b32 off, v11, off offset:132
	scratch_store_b32 off, v27, off offset:160
	;; [unrolled: 1-line block ×4, first 2 shown]
	s_waitcnt vmcnt(2)
	v_lshrrev_b32_e32 v6, 16, v4
	s_waitcnt vmcnt(0)
	scratch_store_b32 off, v9, off offset:144 ; 4-byte Folded Spill
	s_clause 0x5
	global_load_b32 v8, v[91:92], off offset:448
	global_load_b32 v23, v[91:92], off offset:808
	;; [unrolled: 1-line block ×6, first 2 shown]
	v_lshrrev_b32_e32 v10, 16, v9
	s_clause 0x1
	scratch_store_b32 off, v25, off offset:120
	scratch_store_b32 off, v17, off offset:84
	v_mul_f16_e32 v7, v10, v4
	scratch_store_b32 off, v10, off offset:148 ; 4-byte Folded Spill
	v_fma_f16 v7, v9, v6, -v7
	v_mul_f16_e32 v6, v10, v6
	s_delay_alu instid0(VALU_DEP_1) | instskip(SKIP_3) | instid1(VALU_DEP_1)
	v_fmac_f16_e32 v6, v9, v4
	v_lshrrev_b32_e32 v4, 16, v5
	s_waitcnt vmcnt(5)
	v_mov_b32_e32 v9, v8
	v_lshrrev_b32_e32 v10, 16, v9
	s_clause 0x1
	scratch_store_b32 off, v9, off offset:104
	scratch_store_b32 off, v10, off offset:108
	v_mul_f16_e32 v8, v10, v5
	s_delay_alu instid0(VALU_DEP_1) | instskip(SKIP_2) | instid1(VALU_DEP_2)
	v_fma_f16 v8, v9, v4, -v8
	v_mul_f16_e32 v4, v10, v4
	v_lshrrev_b32_e32 v10, 16, v24
	v_fmac_f16_e32 v4, v9, v5
	v_pack_b32_f16 v5, v6, v7
	v_lshrrev_b32_e32 v6, 16, v26
	v_lshrrev_b32_e32 v7, 16, v25
	scratch_store_b32 off, v10, off offset:116 ; 4-byte Folded Spill
	v_pack_b32_f16 v4, v4, v8
	s_clause 0x1
	scratch_store_b32 off, v6, off offset:140
	scratch_store_b32 off, v7, off offset:124
	ds_store_2addr_b32 v251, v5, v4 offset0:22 offset1:112
	global_load_b32 v4, v[0:1], off
	v_add_co_u32 v0, vcc_lo, v2, s3
	global_load_b32 v2, v[2:3], off
	v_add_co_ci_u32_e32 v1, vcc_lo, s2, v3, vcc_lo
	global_load_b32 v8, v[0:1], off
	s_waitcnt vmcnt(2)
	v_lshrrev_b32_e32 v3, 16, v4
	v_mul_f16_e32 v5, v6, v4
	s_delay_alu instid0(VALU_DEP_1)
	v_fma_f16 v5, v26, v3, -v5
	v_mul_f16_e32 v3, v6, v3
	s_waitcnt vmcnt(1)
	v_mul_f16_e32 v6, v7, v2
	s_waitcnt vmcnt(0)
	v_mul_f16_e32 v9, v10, v8
	v_fmac_f16_e32 v3, v26, v4
	v_lshrrev_b32_e32 v4, 16, v2
	s_delay_alu instid0(VALU_DEP_1) | instskip(SKIP_1) | instid1(VALU_DEP_1)
	v_fma_f16 v6, v25, v4, -v6
	v_mul_f16_e32 v4, v7, v4
	v_fmac_f16_e32 v4, v25, v2
	v_pack_b32_f16 v2, v3, v5
	s_delay_alu instid0(VALU_DEP_2) | instskip(SKIP_3) | instid1(VALU_DEP_2)
	v_pack_b32_f16 v3, v4, v6
	ds_store_2addr_b32 v135, v2, v3 offset0:104 offset1:194
	v_add_co_u32 v2, vcc_lo, v0, s3
	v_add_co_ci_u32_e32 v3, vcc_lo, s2, v1, vcc_lo
	v_add_co_u32 v0, vcc_lo, v2, s9
	s_delay_alu instid0(VALU_DEP_2) | instskip(NEXT) | instid1(VALU_DEP_2)
	v_add_co_ci_u32_e32 v1, vcc_lo, s8, v3, vcc_lo
	v_add_co_u32 v4, vcc_lo, v0, s3
	s_delay_alu instid0(VALU_DEP_2) | instskip(NEXT) | instid1(VALU_DEP_2)
	v_add_co_ci_u32_e32 v5, vcc_lo, s2, v1, vcc_lo
	v_add_co_u32 v6, vcc_lo, v4, s3
	global_load_b32 v4, v[4:5], off
	v_add_co_ci_u32_e32 v7, vcc_lo, s2, v5, vcc_lo
	v_lshrrev_b32_e32 v5, 16, v8
	s_delay_alu instid0(VALU_DEP_1) | instskip(SKIP_1) | instid1(VALU_DEP_1)
	v_fma_f16 v9, v24, v5, -v9
	v_mul_f16_e32 v5, v10, v5
	v_fmac_f16_e32 v5, v24, v8
	s_waitcnt vmcnt(0)
	v_lshrrev_b32_e32 v8, 16, v4
	v_mul_f16_e32 v10, v17, v4
	s_delay_alu instid0(VALU_DEP_1) | instskip(SKIP_1) | instid1(VALU_DEP_1)
	v_fma_f16 v10, v21, v8, -v10
	v_mul_f16_e32 v8, v17, v8
	v_fmac_f16_e32 v8, v21, v4
	v_pack_b32_f16 v4, v5, v9
	v_lshrrev_b32_e32 v9, 16, v14
	s_delay_alu instid0(VALU_DEP_3)
	v_pack_b32_f16 v5, v8, v10
	v_lshrrev_b32_e32 v8, 16, v23
	s_clause 0x2
	scratch_store_b32 off, v23, off offset:96
	scratch_store_b32 off, v26, off offset:136
	;; [unrolled: 1-line block ×3, first 2 shown]
	ds_store_2addr_b32 v241, v4, v5 offset0:70 offset1:160
	scratch_store_b32 off, v8, off offset:100 ; 4-byte Folded Spill
	global_load_b32 v4, v[2:3], off
	global_load_b32 v5, v[6:7], off
	v_add_co_u32 v2, vcc_lo, v6, s9
	v_add_co_ci_u32_e32 v3, vcc_lo, s8, v7, vcc_lo
	v_lshrrev_b32_e32 v10, 16, v18
	s_clause 0x1
	scratch_store_b32 off, v14, off offset:64
	scratch_store_b32 off, v10, off offset:60
	s_waitcnt vmcnt(1)
	v_lshrrev_b32_e32 v6, 16, v4
	v_mul_f16_e32 v7, v8, v4
	s_delay_alu instid0(VALU_DEP_1) | instskip(SKIP_3) | instid1(VALU_DEP_2)
	v_fma_f16 v7, v23, v6, -v7
	v_mul_f16_e32 v6, v8, v6
	s_waitcnt vmcnt(0)
	v_mul_f16_e32 v8, v9, v5
	v_fmac_f16_e32 v6, v23, v4
	v_lshrrev_b32_e32 v4, 16, v5
	s_delay_alu instid0(VALU_DEP_1) | instskip(SKIP_1) | instid1(VALU_DEP_1)
	v_fma_f16 v8, v14, v4, -v8
	v_mul_f16_e32 v4, v9, v4
	v_fmac_f16_e32 v4, v14, v5
	v_pack_b32_f16 v5, v6, v7
	v_add_nc_u32_e32 v6, 0x2200, v190
	v_lshrrev_b32_e32 v7, 16, v20
	scratch_store_b32 off, v9, off offset:68 ; 4-byte Folded Spill
	v_pack_b32_f16 v4, v4, v8
	scratch_store_b32 off, v21, off offset:80 ; 4-byte Folded Spill
	v_lshrrev_b32_e32 v14, 16, v15
	scratch_store_b32 off, v7, off offset:76 ; 4-byte Folded Spill
	ds_store_2addr_b32 v6, v5, v4 offset0:74 offset1:164
	global_load_b32 v4, v[0:1], off
	v_add_co_u32 v0, vcc_lo, v2, s3
	global_load_b32 v2, v[2:3], off
	v_lshrrev_b32_e32 v6, 16, v22
	v_add_co_ci_u32_e32 v1, vcc_lo, s2, v3, vcc_lo
	s_clause 0x2
	scratch_store_b32 off, v22, off offset:88
	scratch_store_b32 off, v14, off offset:36
	;; [unrolled: 1-line block ×3, first 2 shown]
	global_load_b32 v8, v[0:1], off
	s_waitcnt vmcnt(2)
	v_lshrrev_b32_e32 v3, 16, v4
	v_mul_f16_e32 v5, v6, v4
	s_delay_alu instid0(VALU_DEP_1)
	v_fma_f16 v5, v22, v3, -v5
	v_mul_f16_e32 v3, v6, v3
	s_waitcnt vmcnt(1)
	v_mul_f16_e32 v6, v7, v2
	s_waitcnt vmcnt(0)
	v_mul_f16_e32 v9, v10, v8
	v_fmac_f16_e32 v3, v22, v4
	v_lshrrev_b32_e32 v4, 16, v2
	s_delay_alu instid0(VALU_DEP_1) | instskip(SKIP_1) | instid1(VALU_DEP_1)
	v_fma_f16 v6, v20, v4, -v6
	v_mul_f16_e32 v4, v7, v4
	v_fmac_f16_e32 v4, v20, v2
	v_pack_b32_f16 v2, v3, v5
	s_delay_alu instid0(VALU_DEP_2) | instskip(SKIP_3) | instid1(VALU_DEP_2)
	v_pack_b32_f16 v3, v4, v6
	ds_store_2addr_b32 v242, v2, v3 offset0:28 offset1:118
	v_add_co_u32 v2, vcc_lo, v0, s3
	v_add_co_ci_u32_e32 v3, vcc_lo, s2, v1, vcc_lo
	v_add_co_u32 v0, vcc_lo, v2, s9
	s_delay_alu instid0(VALU_DEP_2) | instskip(NEXT) | instid1(VALU_DEP_2)
	v_add_co_ci_u32_e32 v1, vcc_lo, s8, v3, vcc_lo
	v_add_co_u32 v4, vcc_lo, v0, s3
	s_delay_alu instid0(VALU_DEP_2) | instskip(NEXT) | instid1(VALU_DEP_2)
	v_add_co_ci_u32_e32 v5, vcc_lo, s2, v1, vcc_lo
	v_add_co_u32 v6, vcc_lo, v4, s3
	global_load_b32 v4, v[4:5], off
	v_add_co_ci_u32_e32 v7, vcc_lo, s2, v5, vcc_lo
	v_lshrrev_b32_e32 v5, 16, v8
	s_delay_alu instid0(VALU_DEP_1) | instskip(SKIP_1) | instid1(VALU_DEP_1)
	v_fma_f16 v9, v18, v5, -v9
	v_mul_f16_e32 v5, v10, v5
	v_fmac_f16_e32 v5, v18, v8
	s_waitcnt vmcnt(0)
	v_lshrrev_b32_e32 v8, 16, v4
	v_mul_f16_e32 v10, v14, v4
	s_delay_alu instid0(VALU_DEP_1) | instskip(SKIP_1) | instid1(VALU_DEP_1)
	v_fma_f16 v10, v15, v8, -v10
	v_mul_f16_e32 v8, v14, v8
	v_fmac_f16_e32 v8, v15, v4
	v_pack_b32_f16 v4, v5, v9
	v_lshrrev_b32_e32 v9, 16, v13
	s_clause 0x1
	scratch_store_b32 off, v13, off offset:24
	scratch_store_b32 off, v15, off offset:32
	v_pack_b32_f16 v5, v8, v10
	v_add_nc_u32_e32 v8, 0x1600, v190
	scratch_store_b32 off, v9, off offset:28 ; 4-byte Folded Spill
	ds_store_2addr_b32 v8, v4, v5 offset0:122 offset1:212
	global_load_b32 v4, v[2:3], off
	global_load_b32 v5, v[6:7], off
	v_lshrrev_b32_e32 v8, 16, v16
	v_add_co_u32 v2, vcc_lo, v6, s9
	v_add_co_ci_u32_e32 v3, vcc_lo, s8, v7, vcc_lo
	s_clause 0x3
	scratch_store_b32 off, v16, off offset:48
	scratch_store_b32 off, v8, off offset:52
	;; [unrolled: 1-line block ×4, first 2 shown]
	s_waitcnt vmcnt(1)
	v_lshrrev_b32_e32 v6, 16, v4
	v_mul_f16_e32 v7, v8, v4
	s_delay_alu instid0(VALU_DEP_1) | instskip(SKIP_3) | instid1(VALU_DEP_2)
	v_fma_f16 v7, v16, v6, -v7
	v_mul_f16_e32 v6, v8, v6
	s_waitcnt vmcnt(0)
	v_mul_f16_e32 v8, v9, v5
	v_fmac_f16_e32 v6, v16, v4
	v_lshrrev_b32_e32 v4, 16, v5
	s_delay_alu instid0(VALU_DEP_1) | instskip(SKIP_1) | instid1(VALU_DEP_1)
	v_fma_f16 v8, v13, v4, -v8
	v_mul_f16_e32 v4, v9, v4
	v_fmac_f16_e32 v4, v13, v5
	v_pack_b32_f16 v5, v6, v7
	v_add_nc_u32_e32 v6, 0x2400, v190
	s_delay_alu instid0(VALU_DEP_3) | instskip(NEXT) | instid1(VALU_DEP_2)
	v_pack_b32_f16 v4, v4, v8
	v_mov_b32_e32 v35, v6
	ds_store_2addr_b32 v6, v5, v4 offset0:126 offset1:216
	global_load_b32 v4, v[0:1], off
	v_add_co_u32 v0, vcc_lo, v2, s3
	global_load_b32 v2, v[2:3], off
	global_load_b32 v6, v190, s[4:5] offset:2880
	v_add_co_ci_u32_e32 v1, vcc_lo, s2, v3, vcc_lo
	v_mov_b32_e32 v39, v35
	s_waitcnt vmcnt(2)
	v_lshrrev_b32_e32 v3, 16, v4
	s_waitcnt vmcnt(0)
	v_lshrrev_b32_e32 v7, 16, v6
	s_delay_alu instid0(VALU_DEP_1)
	v_mul_f16_e32 v5, v7, v4
	scratch_store_b32 off, v7, off offset:44 ; 4-byte Folded Spill
	v_fma_f16 v5, v6, v3, -v5
	v_mul_f16_e32 v3, v7, v3
	v_lshrrev_b32_e32 v7, 16, v19
	s_clause 0x1
	scratch_store_b32 off, v19, off offset:16
	scratch_store_b32 off, v6, off offset:40
	v_fmac_f16_e32 v3, v6, v4
	scratch_store_b32 off, v7, off offset:20 ; 4-byte Folded Spill
	v_lshrrev_b32_e32 v4, 16, v2
	v_mul_f16_e32 v6, v7, v2
	s_delay_alu instid0(VALU_DEP_1) | instskip(SKIP_1) | instid1(VALU_DEP_1)
	v_fma_f16 v6, v19, v4, -v6
	v_mul_f16_e32 v4, v7, v4
	v_fmac_f16_e32 v4, v19, v2
	v_pack_b32_f16 v2, v3, v5
	v_lshrrev_b32_e32 v5, 16, v11
	s_delay_alu instid0(VALU_DEP_3)
	v_pack_b32_f16 v3, v4, v6
	v_lshrrev_b32_e32 v4, 16, v12
	ds_store_2addr_b32 v162, v2, v3 offset0:80 offset1:170
	v_add_co_u32 v2, vcc_lo, v0, s3
	v_add_co_ci_u32_e32 v3, vcc_lo, s2, v1, vcc_lo
	global_load_b32 v0, v[0:1], off
	global_load_b32 v1, v[2:3], off
	s_clause 0x3
	scratch_store_b32 off, v4, off offset:12
	scratch_store_b32 off, v11, off
	scratch_store_b32 off, v5, off offset:4
	scratch_store_b32 off, v12, off offset:8
	v_add_co_u32 v100, s2, 0x10e, v159
	v_cmp_gt_u16_e32 vcc_lo, 30, v74
	v_add_co_ci_u32_e64 v73, null, 0, 0, s2
	s_waitcnt vmcnt(1)
	v_lshrrev_b32_e32 v2, 16, v0
	v_mul_f16_e32 v3, v4, v0
	s_delay_alu instid0(VALU_DEP_1) | instskip(SKIP_3) | instid1(VALU_DEP_2)
	v_fma_f16 v3, v12, v2, -v3
	v_mul_f16_e32 v2, v4, v2
	s_waitcnt vmcnt(0)
	v_mul_f16_e32 v4, v5, v1
	v_fmac_f16_e32 v2, v12, v0
	v_lshrrev_b32_e32 v0, 16, v1
	s_delay_alu instid0(VALU_DEP_1) | instskip(SKIP_1) | instid1(VALU_DEP_1)
	v_fma_f16 v4, v11, v0, -v4
	v_mul_f16_e32 v0, v5, v0
	v_fmac_f16_e32 v0, v11, v1
	v_pack_b32_f16 v1, v2, v3
	v_add_nc_u32_e32 v2, 0xc00, v190
	s_delay_alu instid0(VALU_DEP_3)
	v_pack_b32_f16 v0, v0, v4
	ds_store_b32 v190, v1 offset:6840
	ds_store_b32 v190, v0 offset:10440
	s_load_b128 s[8:11], s[10:11], 0x0
	s_waitcnt lgkmcnt(0)
	s_waitcnt_vscnt null, 0x0
	s_barrier
	buffer_gl0_inv
	ds_load_2addr_b32 v[0:1], v2 offset0:132 offset1:222
	v_mov_b32_e32 v42, v2
	ds_load_2addr_b32 v[2:3], v163 offset0:8 offset1:98
	ds_load_2addr_b32 v[4:5], v190 offset1:90
	s_mul_i32 s12, s8, 0xe10
	s_waitcnt lgkmcnt(2)
	v_lshrrev_b32_e32 v8, 16, v1
	v_lshrrev_b32_e32 v11, 16, v0
	s_waitcnt lgkmcnt(1)
	v_add_f16_e32 v6, v1, v3
	v_lshrrev_b32_e32 v18, 16, v3
	s_waitcnt lgkmcnt(0)
	v_add_f16_e32 v7, v5, v1
	v_lshrrev_b32_e32 v12, 16, v5
	v_sub_f16_e32 v1, v1, v3
	v_fmac_f16_e32 v5, -0.5, v6
	v_add_f16_e32 v6, v8, v18
	v_add_f16_e32 v10, v4, v0
	;; [unrolled: 1-line block ×4, first 2 shown]
	v_sub_f16_e32 v0, v0, v2
	v_fmac_f16_e32 v12, -0.5, v6
	v_sub_f16_e32 v6, v8, v18
	v_add_f16_e32 v28, v7, v3
	v_fma_f16 v3, -0.5, v9, v4
	v_lshrrev_b32_e32 v4, 16, v4
	v_fmamk_f16 v27, v1, 0xbaee, v12
	v_fmamk_f16 v26, v6, 0x3aee, v5
	v_fmac_f16_e32 v5, 0xbaee, v6
	v_fmac_f16_e32 v12, 0x3aee, v1
	v_add_f16_e32 v1, v10, v2
	v_lshrrev_b32_e32 v2, 16, v2
	v_add_f16_e32 v6, v4, v11
	v_add_f16_e32 v18, v25, v18
	v_pack_b32_f16 v29, v5, v12
	v_pack_b32_f16 v25, v26, v27
	v_add_f16_e32 v5, v11, v2
	v_mul_u32_u24_e32 v26, 3, v96
	v_pack_b32_f16 v18, v28, v18
	s_delay_alu instid0(VALU_DEP_3) | instskip(SKIP_3) | instid1(VALU_DEP_3)
	v_fmac_f16_e32 v4, -0.5, v5
	v_sub_f16_e32 v5, v11, v2
	v_add_f16_e32 v2, v6, v2
	v_lshlrev_b32_e32 v26, 2, v26
	v_fmamk_f16 v6, v5, 0x3aee, v3
	v_fmac_f16_e32 v3, 0xbaee, v5
	v_fmamk_f16 v5, v0, 0xbaee, v4
	v_fmac_f16_e32 v4, 0x3aee, v0
	v_mul_lo_u16 v0, v74, 3
	v_pack_b32_f16 v30, v1, v2
	v_add_nc_u32_e32 v2, 0x1800, v190
	v_pack_b32_f16 v31, v6, v5
	v_pack_b32_f16 v32, v3, v4
	s_delay_alu instid0(VALU_DEP_3) | instskip(NEXT) | instid1(VALU_DEP_1)
	v_dual_mov_b32 v49, v2 :: v_dual_and_b32 v0, 0xffff, v0
	v_lshlrev_b32_e32 v34, 2, v0
	v_add_nc_u32_e32 v0, 0x1200, v190
	scratch_store_b32 off, v34, off offset:248 ; 4-byte Folded Spill
	v_mov_b32_e32 v36, v0
	ds_load_2addr_b32 v[19:20], v255 offset0:52 offset1:142
	ds_load_2addr_b32 v[21:22], v128 offset0:56 offset1:146
	;; [unrolled: 1-line block ×12, first 2 shown]
	s_waitcnt lgkmcnt(0)
	s_waitcnt_vscnt null, 0x0
	s_barrier
	buffer_gl0_inv
	ds_store_2addr_b32 v34, v30, v31 offset1:1
	ds_store_b32 v34, v32 offset:8
	v_mov_b32_e32 v35, v26
	ds_store_2addr_b32 v26, v18, v25 offset1:1
	ds_store_b32 v35, v29 offset:8
	v_lshrrev_b32_e32 v31, 16, v20
	v_lshrrev_b32_e32 v26, 16, v22
	v_add_f16_e32 v18, v22, v24
	v_lshrrev_b32_e32 v32, 16, v24
	v_add_f16_e32 v25, v20, v22
	v_sub_f16_e32 v22, v22, v24
	v_add_f16_e32 v28, v19, v21
	v_fmac_f16_e32 v20, -0.5, v18
	v_add_f16_e32 v18, v26, v32
	v_add_f16_e32 v33, v31, v26
	;; [unrolled: 1-line block ×3, first 2 shown]
	v_lshrrev_b32_e32 v30, 16, v21
	v_sub_f16_e32 v21, v21, v23
	v_fmac_f16_e32 v31, -0.5, v18
	v_sub_f16_e32 v18, v26, v32
	v_add_f16_e32 v24, v25, v24
	v_fma_f16 v25, -0.5, v27, v19
	v_lshrrev_b32_e32 v19, 16, v19
	v_fmamk_f16 v34, v22, 0xbaee, v31
	v_fmamk_f16 v26, v18, 0x3aee, v20
	v_fmac_f16_e32 v20, 0xbaee, v18
	v_fmac_f16_e32 v31, 0x3aee, v22
	v_add_f16_e32 v22, v28, v23
	v_lshrrev_b32_e32 v23, 16, v23
	v_add_f16_e32 v27, v19, v30
	s_delay_alu instid0(VALU_DEP_4) | instskip(NEXT) | instid1(VALU_DEP_3)
	v_pack_b32_f16 v18, v20, v31
	v_add_f16_e32 v20, v30, v23
	s_delay_alu instid0(VALU_DEP_1) | instskip(SKIP_2) | instid1(VALU_DEP_2)
	v_fmac_f16_e32 v19, -0.5, v20
	v_sub_f16_e32 v20, v30, v23
	v_add_f16_e32 v23, v27, v23
	v_fmamk_f16 v27, v20, 0x3aee, v25
	v_fmac_f16_e32 v25, 0xbaee, v20
	v_fmamk_f16 v20, v21, 0xbaee, v19
	v_fmac_f16_e32 v19, 0x3aee, v21
	v_pack_b32_f16 v21, v22, v23
	s_delay_alu instid0(VALU_DEP_3) | instskip(NEXT) | instid1(VALU_DEP_3)
	v_pack_b32_f16 v20, v27, v20
	v_pack_b32_f16 v22, v25, v19
	v_mul_u32_u24_e32 v19, 3, v93
	v_lshrrev_b32_e32 v25, 16, v13
	s_delay_alu instid0(VALU_DEP_2)
	v_lshlrev_b32_e32 v23, 2, v19
	v_add_f16_e32 v19, v33, v32
	s_clause 0x1
	scratch_store_b32 off, v35, off offset:256
	scratch_store_b32 off, v23, off offset:252
	ds_store_2addr_b32 v23, v21, v20 offset1:1
	ds_store_b32 v23, v22 offset:8
	v_add_f16_e32 v22, v17, v15
	v_pack_b32_f16 v19, v24, v19
	v_mul_u32_u24_e32 v21, 3, v100
	v_add_f16_e32 v23, v13, v17
	v_lshrrev_b32_e32 v24, 16, v17
	v_fmac_f16_e32 v13, -0.5, v22
	v_lshrrev_b32_e32 v22, 16, v15
	v_pack_b32_f16 v20, v26, v34
	v_lshlrev_b32_e32 v164, 2, v21
	v_add_f16_e32 v21, v16, v14
	v_sub_f16_e32 v17, v17, v15
	v_add_f16_e32 v26, v24, v22
	v_add_f16_e32 v27, v25, v24
	ds_store_2addr_b32 v164, v19, v20 offset1:1
	ds_store_b32 v164, v18 offset:8
	v_add_f16_e32 v20, v12, v16
	v_fmac_f16_e32 v25, -0.5, v26
	v_sub_f16_e32 v24, v24, v22
	v_lshrrev_b32_e32 v19, 16, v16
	v_sub_f16_e32 v16, v16, v14
	v_add_f16_e32 v15, v23, v15
	v_lshrrev_b32_e32 v18, 16, v11
	v_fmamk_f16 v26, v24, 0x3aee, v13
	v_fmac_f16_e32 v13, 0xbaee, v24
	v_fmamk_f16 v24, v17, 0xbaee, v25
	v_fmac_f16_e32 v25, 0x3aee, v17
	v_add_f16_e32 v17, v20, v14
	v_lshrrev_b32_e32 v14, 16, v14
	v_fma_f16 v20, -0.5, v21, v12
	v_lshrrev_b32_e32 v12, 16, v12
	v_pack_b32_f16 v13, v13, v25
	v_mov_b32_e32 v25, v36
	v_add_f16_e32 v21, v19, v14
	v_mov_b32_e32 v34, v41
	v_add_f16_e32 v23, v12, v19
	v_sub_f16_e32 v19, v19, v14
	s_delay_alu instid0(VALU_DEP_4) | instskip(NEXT) | instid1(VALU_DEP_3)
	v_fmac_f16_e32 v12, -0.5, v21
	v_add_f16_e32 v14, v23, v14
	s_delay_alu instid0(VALU_DEP_3) | instskip(SKIP_1) | instid1(VALU_DEP_4)
	v_fmamk_f16 v21, v19, 0x3aee, v20
	v_fmac_f16_e32 v20, 0xbaee, v19
	v_fmamk_f16 v19, v16, 0xbaee, v12
	v_fmac_f16_e32 v12, 0x3aee, v16
	v_pack_b32_f16 v14, v17, v14
	v_mul_u32_u24_e32 v17, 3, v234
	s_delay_alu instid0(VALU_DEP_4) | instskip(NEXT) | instid1(VALU_DEP_4)
	v_pack_b32_f16 v16, v21, v19
	v_pack_b32_f16 v12, v20, v12
	v_lshrrev_b32_e32 v19, 16, v7
	s_delay_alu instid0(VALU_DEP_4) | instskip(SKIP_1) | instid1(VALU_DEP_3)
	v_lshlrev_b32_e32 v160, 2, v17
	v_add_f16_e32 v17, v7, v11
	v_add_f16_e32 v21, v19, v18
	ds_store_2addr_b32 v160, v14, v16 offset1:1
	ds_store_b32 v160, v12 offset:8
	v_add_f16_e32 v14, v27, v22
	v_add_f16_e32 v16, v11, v9
	v_pack_b32_f16 v12, v26, v24
	v_sub_f16_e32 v11, v11, v9
	v_mov_b32_e32 v24, v39
	v_pack_b32_f16 v14, v15, v14
	v_add_nc_u32_e32 v15, 0x1c2, v159
	v_fmac_f16_e32 v7, -0.5, v16
	v_lshrrev_b32_e32 v16, 16, v9
	v_add_f16_e32 v9, v17, v9
	v_mov_b32_e32 v27, v49
	v_mul_u32_u24_e32 v15, 3, v15
	s_delay_alu instid0(VALU_DEP_4) | instskip(SKIP_1) | instid1(VALU_DEP_3)
	v_add_f16_e32 v20, v18, v16
	v_sub_f16_e32 v18, v18, v16
	v_lshlrev_b32_e32 v161, 2, v15
	v_sub_f16_e32 v15, v10, v8
	s_delay_alu instid0(VALU_DEP_4) | instskip(NEXT) | instid1(VALU_DEP_4)
	v_fmac_f16_e32 v19, -0.5, v20
	v_fmamk_f16 v20, v18, 0x3aee, v7
	v_fmac_f16_e32 v7, 0xbaee, v18
	ds_store_2addr_b32 v161, v14, v12 offset1:1
	ds_store_b32 v161, v13 offset:8
	v_lshrrev_b32_e32 v12, 16, v10
	v_add_f16_e32 v14, v10, v8
	v_add_f16_e32 v10, v6, v10
	v_fmamk_f16 v18, v11, 0xbaee, v19
	v_fmac_f16_e32 v19, 0x3aee, v11
	v_lshrrev_b32_e32 v13, 16, v1
	v_fma_f16 v11, -0.5, v14, v6
	v_add_f16_e32 v10, v10, v8
	v_lshrrev_b32_e32 v8, 16, v8
	v_lshrrev_b32_e32 v6, 16, v6
	v_pack_b32_f16 v7, v7, v19
	s_delay_alu instid0(VALU_DEP_3) | instskip(NEXT) | instid1(VALU_DEP_3)
	v_add_f16_e32 v14, v12, v8
	v_add_f16_e32 v17, v6, v12
	v_sub_f16_e32 v12, v12, v8
	s_delay_alu instid0(VALU_DEP_3) | instskip(NEXT) | instid1(VALU_DEP_3)
	v_fmac_f16_e32 v6, -0.5, v14
	v_add_f16_e32 v8, v17, v8
	s_delay_alu instid0(VALU_DEP_3) | instskip(SKIP_1) | instid1(VALU_DEP_4)
	v_fmamk_f16 v14, v12, 0x3aee, v11
	v_fmac_f16_e32 v11, 0xbaee, v12
	v_fmamk_f16 v12, v15, 0xbaee, v6
	s_delay_alu instid0(VALU_DEP_4) | instskip(SKIP_2) | instid1(VALU_DEP_4)
	v_pack_b32_f16 v8, v10, v8
	v_mul_u32_u24_e32 v10, 3, v233
	v_fmac_f16_e32 v6, 0x3aee, v15
	v_pack_b32_f16 v12, v14, v12
	s_delay_alu instid0(VALU_DEP_3) | instskip(NEXT) | instid1(VALU_DEP_3)
	v_lshlrev_b32_e32 v101, 2, v10
	v_pack_b32_f16 v6, v11, v6
	v_add_f16_e32 v10, v5, v3
	v_add_f16_e32 v11, v1, v5
	ds_store_2addr_b32 v101, v8, v12 offset1:1
	ds_store_b32 v101, v6 offset:8
	v_add_f16_e32 v8, v21, v16
	v_lshrrev_b32_e32 v12, 16, v5
	v_fmac_f16_e32 v1, -0.5, v10
	v_lshrrev_b32_e32 v10, 16, v3
	v_pack_b32_f16 v6, v20, v18
	v_pack_b32_f16 v8, v9, v8
	v_mul_u32_u24_e32 v9, 3, v216
	v_sub_f16_e32 v5, v5, v3
	v_add_f16_e32 v14, v12, v10
	v_add_f16_e32 v15, v13, v12
	v_sub_f16_e32 v12, v12, v10
	v_lshlrev_b32_e32 v137, 2, v9
	v_sub_f16_e32 v9, v4, v2
	v_fmac_f16_e32 v13, -0.5, v14
	v_add_f16_e32 v3, v11, v3
	v_fmamk_f16 v14, v12, 0x3aee, v1
	ds_store_2addr_b32 v137, v8, v6 offset1:1
	ds_store_b32 v137, v7 offset:8
	v_lshrrev_b32_e32 v6, 16, v4
	v_add_f16_e32 v8, v4, v2
	v_add_f16_e32 v4, v0, v4
	v_fmac_f16_e32 v1, 0xbaee, v12
	v_fmamk_f16 v12, v5, 0xbaee, v13
	v_fmac_f16_e32 v13, 0x3aee, v5
	v_fma_f16 v5, -0.5, v8, v0
	v_add_f16_e32 v4, v4, v2
	v_lshrrev_b32_e32 v2, 16, v2
	v_lshrrev_b32_e32 v0, 16, v0
	v_pack_b32_f16 v1, v1, v13
	s_delay_alu instid0(VALU_DEP_3) | instskip(NEXT) | instid1(VALU_DEP_3)
	v_add_f16_e32 v8, v6, v2
	v_add_f16_e32 v11, v0, v6
	v_sub_f16_e32 v6, v6, v2
	s_delay_alu instid0(VALU_DEP_3) | instskip(NEXT) | instid1(VALU_DEP_3)
	v_fmac_f16_e32 v0, -0.5, v8
	v_add_f16_e32 v2, v11, v2
	s_delay_alu instid0(VALU_DEP_3) | instskip(SKIP_1) | instid1(VALU_DEP_4)
	v_fmamk_f16 v8, v6, 0x3aee, v5
	v_fmac_f16_e32 v5, 0xbaee, v6
	v_fmamk_f16 v6, v9, 0xbaee, v0
	s_delay_alu instid0(VALU_DEP_4) | instskip(SKIP_2) | instid1(VALU_DEP_4)
	v_pack_b32_f16 v2, v4, v2
	v_mul_u32_u24_e32 v4, 3, v88
	v_fmac_f16_e32 v0, 0x3aee, v9
	v_pack_b32_f16 v6, v8, v6
	s_delay_alu instid0(VALU_DEP_3) | instskip(NEXT) | instid1(VALU_DEP_3)
	v_lshlrev_b32_e32 v111, 2, v4
	v_pack_b32_f16 v0, v5, v0
	ds_store_2addr_b32 v111, v2, v6 offset1:1
	ds_store_b32 v111, v0 offset:8
	v_add_f16_e32 v2, v15, v10
	v_pack_b32_f16 v0, v14, v12
	s_delay_alu instid0(VALU_DEP_2) | instskip(SKIP_1) | instid1(VALU_DEP_1)
	v_pack_b32_f16 v2, v3, v2
	v_mul_u32_u24_e32 v3, 3, v87
	v_lshlrev_b32_e32 v110, 2, v3
	ds_store_2addr_b32 v110, v2, v0 offset1:1
	ds_store_b32 v110, v1 offset:8
	v_and_b32_e32 v0, 0xffff, v93
	s_waitcnt lgkmcnt(0)
	s_waitcnt_vscnt null, 0x0
	s_barrier
	buffer_gl0_inv
	v_mul_u32_u24_e32 v1, 0xaaab, v0
	v_mul_u32_u24_e32 v0, 0x8889, v0
	s_delay_alu instid0(VALU_DEP_2) | instskip(NEXT) | instid1(VALU_DEP_2)
	v_lshrrev_b32_e32 v5, 17, v1
	v_lshrrev_b32_e32 v57, 20, v0
	s_delay_alu instid0(VALU_DEP_2) | instskip(NEXT) | instid1(VALU_DEP_2)
	v_mul_lo_u16 v1, v5, 3
	v_mul_lo_u16 v0, v57, 30
	s_delay_alu instid0(VALU_DEP_2) | instskip(NEXT) | instid1(VALU_DEP_1)
	v_sub_nc_u16 v6, v93, v1
	v_mul_lo_u16 v1, v6, 36
	v_mad_u16 v5, v5, 30, v6
	s_delay_alu instid0(VALU_DEP_2) | instskip(NEXT) | instid1(VALU_DEP_2)
	v_and_b32_e32 v1, 0xffff, v1
	v_and_b32_e32 v5, 0xffff, v5
	s_delay_alu instid0(VALU_DEP_2) | instskip(NEXT) | instid1(VALU_DEP_1)
	v_add_co_u32 v1, s2, s6, v1
	v_add_co_ci_u32_e64 v2, null, s7, 0, s2
	s_clause 0x2
	global_load_b32 v186, v[1:2], off offset:32
	global_load_b128 v[122:125], v[1:2], off
	global_load_b128 v[147:150], v[1:2], off offset:16
	ds_load_2addr_b32 v[37:38], v163 offset0:8 offset1:98
	ds_load_2addr_b32 v[11:12], v162 offset0:80 offset1:170
	;; [unrolled: 1-line block ×10, first 2 shown]
	s_waitcnt lgkmcnt(9)
	v_lshrrev_b32_e32 v8, 16, v37
	s_waitcnt lgkmcnt(8)
	v_lshrrev_b32_e32 v1, 16, v11
	;; [unrolled: 2-line block ×7, first 2 shown]
	v_lshrrev_b32_e32 v94, 16, v36
	v_lshrrev_b32_e32 v99, 16, v38
	s_waitcnt lgkmcnt(0)
	v_lshrrev_b32_e32 v16, 16, v131
	v_lshrrev_b32_e32 v103, 16, v76
	;; [unrolled: 1-line block ×5, first 2 shown]
	s_waitcnt vmcnt(2)
	v_lshrrev_b32_e32 v17, 16, v186
	s_waitcnt vmcnt(1)
	v_lshrrev_b32_e32 v213, 16, v123
	;; [unrolled: 2-line block ×3, first 2 shown]
	v_lshrrev_b32_e32 v245, 16, v125
	v_lshrrev_b32_e32 v13, 16, v150
	;; [unrolled: 1-line block ×3, first 2 shown]
	v_mul_f16_e64 v3, v11, v213
	v_mul_f16_e32 v7, v37, v9
	v_mul_f16_e64 v4, v35, v245
	v_lshrrev_b32_e32 v254, 16, v149
	v_lshrrev_b32_e32 v166, 16, v122
	v_fmac_f16_e32 v3, v1, v123
	v_fmac_f16_e64 v7, v8, v148
	v_mul_f16_e32 v8, v8, v9
	v_mul_f16_e32 v9, v75, v13
	v_mul_f16_e64 v1, v1, v213
	v_fmac_f16_e32 v4, v2, v125
	v_mul_f16_e64 v2, v2, v245
	v_fma_f16 v23, v37, v148, -v8
	v_fmac_f16_e64 v9, v10, v150
	v_mul_f16_e32 v10, v10, v13
	v_fma_f16 v53, v11, v123, -v1
	v_fma_f16 v22, v35, v125, -v2
	v_lshrrev_b32_e32 v2, 16, v39
	v_lshrrev_b32_e32 v168, 16, v124
	v_fma_f16 v55, v75, v150, -v10
	v_add_f16_e32 v62, v39, v53
	v_add_f16_e32 v1, v22, v23
	v_mul_f16_e64 v63, v86, v247
	v_mul_f16_e64 v64, v90, v254
	v_add_f16_e32 v8, v53, v55
	v_sub_f16_e32 v10, v23, v55
	v_fma_f16 v1, -0.5, v1, v39
	v_lshrrev_b32_e32 v11, 16, v84
	v_mul_f16_e64 v61, v84, v168
	v_fmac_f16_e32 v39, -0.5, v8
	v_sub_f16_e32 v8, v22, v53
	v_fmac_f16_e64 v63, v14, v147
	v_mul_f16_e64 v14, v14, v247
	v_fmac_f16_e64 v64, v15, v149
	v_mul_f16_e64 v15, v15, v254
	v_add_f16_e32 v13, v8, v10
	v_lshrrev_b32_e32 v8, 16, v78
	v_mul_f16_e64 v10, v78, v166
	v_fmac_f16_e32 v61, v11, v124
	v_mul_f16_e64 v11, v11, v168
	v_mul_f16_e64 v66, v131, v17
	v_mul_f16_e32 v17, v16, v17
	v_fmac_f16_e32 v10, v8, v122
	v_mul_f16_e64 v8, v8, v166
	v_fma_f16 v68, v86, v147, -v14
	v_fma_f16 v67, v90, v149, -v15
	v_fmac_f16_e64 v66, v16, v186
	v_fma_f16 v70, v84, v124, -v11
	v_fma_f16 v16, v78, v122, -v8
	;; [unrolled: 1-line block ×3, first 2 shown]
	v_add_f16_e32 v8, v68, v67
	v_add_f16_e32 v72, v10, v61
	v_sub_f16_e32 v15, v64, v66
	v_add_f16_e32 v71, v16, v70
	v_sub_f16_e32 v14, v67, v69
	v_fma_f16 v11, -0.5, v8, v16
	v_add_f16_e32 v8, v70, v69
	v_mov_b32_e32 v35, v42
	v_lshrrev_b32_e32 v84, 16, v12
	v_sub_f16_e32 v19, v63, v64
	v_sub_f16_e32 v21, v68, v67
	v_fmac_f16_e32 v16, -0.5, v8
	v_sub_f16_e32 v8, v68, v70
	v_sub_f16_e32 v56, v61, v66
	;; [unrolled: 1-line block ×4, first 2 shown]
	v_fmamk_f16 v59, v19, 0xbb9c, v16
	v_add_f16_e32 v20, v8, v14
	v_add_f16_e32 v8, v63, v64
	v_fmac_f16_e32 v16, 0x3b9c, v19
	v_sub_f16_e32 v48, v3, v9
	v_add_f16_e32 v62, v62, v22
	v_add_f16_e32 v6, v2, v3
	v_fma_f16 v14, -0.5, v8, v10
	v_add_f16_e32 v8, v61, v66
	v_fmac_f16_e32 v16, 0xb8b4, v56
	v_add_f16_e32 v62, v62, v23
	v_add_f16_e32 v6, v6, v4
	v_fmac_f16_e32 v59, 0x38b4, v56
	v_fmac_f16_e32 v10, -0.5, v8
	v_sub_f16_e32 v8, v63, v61
	v_fmac_f16_e32 v16, 0x34f2, v20
	v_add_f16_e32 v62, v62, v55
	v_sub_f16_e32 v61, v61, v63
	v_fmamk_f16 v60, v21, 0x3b9c, v10
	v_add_f16_e32 v52, v8, v15
	v_and_b32_e32 v8, 0xff, v74
	v_fmac_f16_e32 v10, 0xbb9c, v21
	v_add_f16_e32 v6, v6, v7
	v_fmac_f16_e32 v60, 0xb8b4, v54
	v_fmac_f16_e32 v59, 0x34f2, v20
	v_mul_lo_u16 v15, 0xab, v8
	v_fmac_f16_e32 v10, 0x38b4, v54
	v_add_f16_e32 v6, v6, v9
	v_fmac_f16_e32 v60, 0x34f2, v52
	s_delay_alu instid0(VALU_DEP_4) | instskip(NEXT) | instid1(VALU_DEP_4)
	v_lshrrev_b16 v78, 9, v15
	v_fmac_f16_e32 v10, 0x34f2, v52
	s_delay_alu instid0(VALU_DEP_2) | instskip(SKIP_1) | instid1(VALU_DEP_2)
	v_mul_lo_u16 v15, v78, 3
	v_and_b32_e32 v78, 0xffff, v78
	v_sub_nc_u16 v18, v74, v15
	v_fmamk_f16 v15, v17, 0xbb9c, v39
	v_fmac_f16_e32 v39, 0x3b9c, v17
	s_delay_alu instid0(VALU_DEP_4) | instskip(NEXT) | instid1(VALU_DEP_4)
	v_mul_u32_u24_e32 v78, 30, v78
	v_and_b32_e32 v79, 0xff, v18
	v_mul_f16_e32 v18, 0xb4f2, v16
	s_delay_alu instid0(VALU_DEP_4) | instskip(SKIP_1) | instid1(VALU_DEP_4)
	v_fmac_f16_e32 v39, 0xb8b4, v48
	v_fmac_f16_e32 v15, 0x38b4, v48
	v_mad_u64_u32 v[41:42], null, v79, 36, s[6:7]
	s_clause 0x2
	global_load_b128 v[44:47], v[41:42], off
	global_load_b128 v[143:146], v[41:42], off offset:16
	global_load_b32 v184, v[41:42], off offset:32
	v_fmac_f16_e32 v39, 0x34f2, v13
	v_fmac_f16_e32 v18, 0x3b9c, v10
	v_add_lshl_u32 v236, v78, v79, 2
	v_fmac_f16_e32 v15, 0x34f2, v13
	s_delay_alu instid0(VALU_DEP_3)
	v_add_f16_e32 v65, v39, v18
	v_sub_f16_e32 v18, v39, v18
	s_waitcnt vmcnt(2)
	v_lshrrev_b32_e32 v127, 16, v44
	v_lshrrev_b32_e32 v126, 16, v46
	s_waitcnt vmcnt(1)
	v_lshrrev_b32_e32 v173, 16, v143
	v_lshrrev_b32_e32 v172, 16, v145
	s_waitcnt vmcnt(0)
	v_lshrrev_b32_e32 v165, 16, v184
	v_mul_f16_e32 v37, v80, v127
	v_mul_f16_e32 v90, v12, v126
	v_mul_f16_e64 v98, v36, v173
	v_mul_f16_e32 v82, v40, v127
	v_mul_f16_e64 v105, v38, v172
	v_fma_f16 v81, v40, v44, -v37
	v_mul_f16_e32 v37, v84, v126
	v_lshrrev_b32_e32 v133, 16, v45
	v_lshrrev_b32_e32 v136, 16, v47
	v_mul_f16_e64 v113, v76, v165
	v_lshrrev_b32_e32 v129, 16, v144
	v_fma_f16 v86, v12, v46, -v37
	v_mul_f16_e64 v12, v94, v173
	v_fmac_f16_e32 v82, v80, v44
	v_lshrrev_b32_e32 v80, 16, v89
	v_fmac_f16_e32 v90, v84, v46
	v_fmac_f16_e64 v98, v94, v143
	v_fma_f16 v95, v36, v143, -v12
	v_mul_f16_e64 v12, v99, v172
	v_fmac_f16_e64 v105, v99, v145
	v_fmac_f16_e64 v113, v103, v184
	v_add_f16_e32 v79, v81, v86
	s_delay_alu instid0(VALU_DEP_4)
	v_fma_f16 v104, v38, v145, -v12
	v_and_b32_e32 v12, 0xff, v96
	v_mul_f16_e64 v38, v103, v165
	v_sub_f16_e64 v212, v113, v105
	v_add_f16_e64 v214, v98, v105
	v_sub_f16_e64 v219, v95, v104
	v_mul_lo_u16 v36, 0xab, v12
	v_fma_f16 v112, v76, v184, -v38
	v_sub_f16_e64 v220, v90, v113
	v_fma_f16 v214, -0.5, v214, v82
	v_sub_f16_e64 v222, v98, v105
	v_lshrrev_b16 v106, 9, v36
	v_sub_f16_e64 v211, v112, v104
	v_sub_f16_e64 v215, v86, v112
	v_add_f16_e32 v79, v79, v95
	s_delay_alu instid0(VALU_DEP_4) | instskip(NEXT) | instid1(VALU_DEP_3)
	v_mul_lo_u16 v36, v106, 3
	v_fma_f16 v218, 0xbb9c, v215, v214
	s_delay_alu instid0(VALU_DEP_3) | instskip(SKIP_1) | instid1(VALU_DEP_4)
	v_add_f16_e32 v79, v79, v104
	v_fmac_f16_e64 v214, 0x3b9c, v215
	v_sub_nc_u16 v36, v96, v36
	s_delay_alu instid0(VALU_DEP_4) | instskip(NEXT) | instid1(VALU_DEP_4)
	v_fmac_f16_e64 v218, 0xb8b4, v219
	v_add_f16_e32 v79, v79, v112
	s_delay_alu instid0(VALU_DEP_4) | instskip(NEXT) | instid1(VALU_DEP_4)
	v_fmac_f16_e64 v214, 0x38b4, v219
	v_and_b32_e32 v107, 0xff, v36
	s_delay_alu instid0(VALU_DEP_1)
	v_mad_u64_u32 v[36:37], null, v107, 36, s[6:7]
	global_load_b128 v[40:43], v[36:37], off
	s_waitcnt vmcnt(0)
	v_lshrrev_b32_e32 v120, 16, v40
	v_lshrrev_b32_e32 v118, 16, v41
	;; [unrolled: 1-line block ×4, first 2 shown]
	s_delay_alu instid0(VALU_DEP_4) | instskip(NEXT) | instid1(VALU_DEP_1)
	v_mul_f16_e32 v38, v109, v120
	v_fma_f16 v114, v77, v40, -v38
	ds_load_2addr_b32 v[38:39], v242 offset0:28 offset1:118
	v_mul_f16_e32 v77, v77, v120
	s_delay_alu instid0(VALU_DEP_1)
	v_fmac_f16_e32 v77, v109, v40
	s_waitcnt lgkmcnt(0)
	v_lshrrev_b32_e32 v115, 16, v38
	v_lshrrev_b32_e32 v117, 16, v39
	v_mul_f16_e64 v132, v38, v133
	v_mul_f16_e64 v138, v39, v118
	s_delay_alu instid0(VALU_DEP_4) | instskip(NEXT) | instid1(VALU_DEP_3)
	v_mul_f16_e64 v75, v115, v133
	v_fmac_f16_e64 v132, v115, v45
	s_delay_alu instid0(VALU_DEP_3) | instskip(NEXT) | instid1(VALU_DEP_3)
	v_fmac_f16_e64 v138, v117, v41
	v_fma_f16 v116, v38, v45, -v75
	v_mul_f16_e32 v75, v117, v118
	v_mul_f16_e32 v38, v121, v119
	s_delay_alu instid0(VALU_DEP_2) | instskip(NEXT) | instid1(VALU_DEP_2)
	v_fma_f16 v131, v39, v41, -v75
	v_fma_f16 v139, v83, v42, -v38
	ds_load_2addr_b32 v[38:39], v128 offset0:56 offset1:146
	v_mul_f16_e32 v83, v83, v119
	v_add_f16_e64 v189, v114, v139
	s_delay_alu instid0(VALU_DEP_2) | instskip(SKIP_1) | instid1(VALU_DEP_2)
	v_fmac_f16_e32 v83, v121, v42
	v_lshrrev_b32_e32 v121, 16, v146
	v_add_f16_e64 v193, v77, v83
	s_waitcnt lgkmcnt(0)
	v_lshrrev_b32_e32 v140, 16, v38
	v_lshrrev_b32_e32 v142, 16, v39
	v_mul_f16_e64 v153, v38, v136
	v_mul_f16_e64 v175, v39, v102
	s_delay_alu instid0(VALU_DEP_4) | instskip(NEXT) | instid1(VALU_DEP_3)
	v_mul_f16_e64 v75, v140, v136
	v_fmac_f16_e64 v153, v140, v47
	s_delay_alu instid0(VALU_DEP_3) | instskip(NEXT) | instid1(VALU_DEP_3)
	v_fmac_f16_e64 v175, v142, v43
	v_fma_f16 v141, v38, v47, -v75
	v_mul_f16_e64 v75, v142, v102
	s_delay_alu instid0(VALU_DEP_2) | instskip(NEXT) | instid1(VALU_DEP_2)
	v_sub_f16_e64 v208, v116, v141
	v_fma_f16 v151, v39, v43, -v75
	s_clause 0x1
	global_load_b32 v201, v[36:37], off offset:32
	global_load_b128 v[36:39], v[36:37], off offset:16
	s_waitcnt vmcnt(1)
	v_lshrrev_b32_e32 v26, 16, v201
	s_waitcnt vmcnt(0)
	v_lshrrev_b32_e32 v134, 16, v36
	v_lshrrev_b32_e32 v109, 16, v38
	;; [unrolled: 1-line block ×3, first 2 shown]
	s_delay_alu instid0(VALU_DEP_3) | instskip(NEXT) | instid1(VALU_DEP_1)
	v_mul_f16_e64 v75, v176, v134
	v_fma_f16 v177, v85, v36, -v75
	ds_load_2addr_b32 v[75:76], v49 offset0:84 offset1:174
	v_mul_f16_e64 v85, v85, v134
	s_delay_alu instid0(VALU_DEP_1) | instskip(SKIP_4) | instid1(VALU_DEP_3)
	v_fmac_f16_e64 v85, v176, v36
	s_waitcnt lgkmcnt(0)
	v_lshrrev_b32_e32 v178, 16, v75
	v_lshrrev_b32_e32 v180, 16, v76
	v_mul_f16_e64 v183, v75, v129
	v_mul_f16_e64 v108, v178, v129
	s_delay_alu instid0(VALU_DEP_2) | instskip(NEXT) | instid1(VALU_DEP_2)
	v_fmac_f16_e64 v183, v178, v144
	v_fma_f16 v179, v75, v144, -v108
	v_lshrrev_b32_e32 v108, 16, v37
	v_mul_f16_e32 v75, v80, v109
	s_delay_alu instid0(VALU_DEP_4)
	v_sub_f16_e64 v227, v153, v183
	v_add_f16_e64 v228, v153, v183
	v_add_f16_e64 v204, v141, v179
	v_mul_f16_e64 v181, v180, v108
	v_mul_f16_e64 v187, v76, v108
	v_fma_f16 v84, v89, v38, -v75
	v_mul_f16_e32 v89, v89, v109
	v_sub_f16_e64 v231, v141, v179
	v_fma_f16 v181, v76, v37, -v181
	ds_load_2addr_b32 v[75:76], v251 offset0:112 offset1:202
	v_fmac_f16_e64 v187, v180, v37
	v_fmac_f16_e32 v89, v80, v38
	v_sub_f16_e64 v200, v177, v84
	v_add_f16_e64 v80, v151, v181
	s_delay_alu instid0(VALU_DEP_3) | instskip(SKIP_4) | instid1(VALU_DEP_2)
	v_sub_f16_e64 v196, v85, v89
	s_waitcnt lgkmcnt(0)
	v_lshrrev_b32_e32 v94, 16, v75
	v_mul_f16_e32 v99, v75, v121
	v_mul_f16_e32 v117, v76, v103
	v_fmac_f16_e64 v99, v94, v146
	v_mul_f16_e32 v94, v94, v121
	s_delay_alu instid0(VALU_DEP_2) | instskip(NEXT) | instid1(VALU_DEP_2)
	v_sub_f16_e64 v210, v99, v183
	v_fma_f16 v94, v75, v146, -v94
	v_lshrrev_b32_e32 v75, 16, v76
	s_delay_alu instid0(VALU_DEP_2) | instskip(NEXT) | instid1(VALU_DEP_2)
	v_sub_f16_e64 v209, v94, v179
	v_mul_f16_e32 v115, v75, v103
	v_fmac_f16_e32 v117, v75, v39
	v_add_f16_e64 v206, v116, v94
	v_sub_f16_e64 v229, v116, v94
	v_add_f16_e64 v208, v208, v209
	v_fma_f16 v115, v76, v39, -v115
	v_lshrrev_b32_e32 v76, 16, v130
	v_sub_f16_e64 v209, v132, v153
	v_sub_f16_e64 v199, v138, v117
	s_delay_alu instid0(VALU_DEP_4) | instskip(NEXT) | instid1(VALU_DEP_4)
	v_add_f16_e64 v142, v131, v115
	v_mul_f16_e64 v140, v76, v26
	v_sub_f16_e64 v180, v181, v115
	v_add_f16_e64 v209, v209, v210
	v_sub_f16_e64 v210, v86, v95
	s_delay_alu instid0(VALU_DEP_4) | instskip(SKIP_1) | instid1(VALU_DEP_3)
	v_fma_f16 v140, v130, v201, -v140
	v_mul_f16_e64 v130, v130, v26
	v_add_f16_e64 v210, v210, v211
	v_sub_f16_e64 v211, v90, v98
	s_delay_alu instid0(VALU_DEP_4) | instskip(NEXT) | instid1(VALU_DEP_4)
	v_add_f16_e64 v188, v139, v140
	v_fmac_f16_e64 v130, v76, v201
	ds_load_2addr_b32 v[75:76], v190 offset1:90
	v_sub_f16_e64 v191, v84, v140
	v_add_f16_e64 v211, v211, v212
	v_add_f16_e64 v212, v95, v104
	;; [unrolled: 1-line block ×3, first 2 shown]
	v_sub_f16_e64 v194, v89, v130
	v_sub_f16_e64 v198, v83, v130
	;; [unrolled: 1-line block ×3, first 2 shown]
	v_fma_f16 v212, -0.5, v212, v81
	v_fmac_f16_e64 v218, 0x34f2, v211
	v_sub_f16_e32 v95, v95, v86
	v_add_f16_e32 v86, v86, v112
	v_fmac_f16_e64 v214, 0x34f2, v211
	v_fma_f16 v221, 0x3b9c, v220, v212
	v_mul_f16_e64 v223, 0x38b4, v218
	v_fmac_f16_e64 v212, 0xbb9c, v220
	v_fmac_f16_e32 v81, -0.5, v86
	s_waitcnt lgkmcnt(0)
	v_fmac_f16_e64 v221, 0x38b4, v222
	s_barrier
	v_fma_f16 v80, -0.5, v80, v76
	v_lshrrev_b32_e32 v176, 16, v76
	v_add_f16_e64 v178, v76, v131
	v_fmac_f16_e64 v76, -0.5, v142
	v_sub_f16_e64 v142, v151, v131
	v_fmac_f16_e64 v221, 0x34f2, v210
	v_fma_f16 v204, -0.5, v204, v75
	v_fma_f16 v206, -0.5, v206, v75
	v_fmac_f16_e64 v212, 0xb8b4, v222
	v_add_f16_e64 v142, v142, v180
	v_add_f16_e64 v180, v177, v84
	v_fmac_f16_e64 v223, 0x3a79, v221
	v_mul_f16_e64 v221, 0xb8b4, v221
	v_fmac_f16_e64 v212, 0x34f2, v210
	buffer_gl0_inv
	v_fma_f16 v180, -0.5, v180, v114
	v_fmac_f16_e64 v114, -0.5, v188
	v_sub_f16_e64 v188, v177, v139
	v_fmac_f16_e64 v221, 0x3a79, v218
	v_add_f16_e64 v218, v82, v90
	s_delay_alu instid0(VALU_DEP_4) | instskip(NEXT) | instid1(VALU_DEP_4)
	v_fma_f16 v197, 0xbb9c, v196, v114
	v_add_f16_e64 v188, v188, v191
	v_add_f16_e64 v191, v85, v89
	v_fmac_f16_e64 v114, 0x3b9c, v196
	v_add_f16_e64 v218, v218, v98
	v_fmac_f16_e64 v197, 0x38b4, v198
	s_delay_alu instid0(VALU_DEP_4)
	v_fma_f16 v191, -0.5, v191, v77
	v_fmac_f16_e64 v77, -0.5, v192
	v_sub_f16_e64 v192, v85, v83
	v_fmac_f16_e64 v114, 0xb8b4, v198
	v_add_f16_e64 v218, v218, v105
	v_sub_f16_e32 v83, v83, v85
	v_fma_f16 v202, 0x3b9c, v200, v77
	v_add_f16_e64 v192, v192, v194
	v_sub_f16_e64 v194, v175, v187
	v_fmac_f16_e64 v77, 0xbb9c, v200
	v_fmac_f16_e64 v114, 0x34f2, v188
	v_add_f16_e64 v218, v218, v113
	v_fmac_f16_e64 v202, 0xb8b4, v203
	v_fma_f16 v195, 0xbb9c, v194, v76
	v_fmac_f16_e64 v76, 0x3b9c, v194
	v_fmac_f16_e64 v77, 0x38b4, v203
	v_mul_f16_e64 v205, 0xb4f2, v114
	v_fmac_f16_e64 v202, 0x34f2, v192
	v_fmac_f16_e64 v197, 0x34f2, v188
	;; [unrolled: 1-line block ×5, first 2 shown]
	s_delay_alu instid0(VALU_DEP_3) | instskip(NEXT) | instid1(VALU_DEP_3)
	v_fmac_f16_e64 v76, 0x34f2, v142
	v_fmac_f16_e64 v205, 0x3b9c, v77
	s_delay_alu instid0(VALU_DEP_3) | instskip(SKIP_1) | instid1(VALU_DEP_3)
	v_fmac_f16_e64 v195, 0x34f2, v142
	v_mul_f16_e32 v77, 0xb4f2, v77
	v_add_f16_e64 v207, v76, v205
	v_sub_f16_e64 v76, v76, v205
	v_lshrrev_b32_e32 v205, 16, v75
	v_add_f16_e32 v75, v75, v116
	v_sub_f16_e64 v116, v141, v116
	v_fmac_f16_e32 v77, 0xbb9c, v114
	s_delay_alu instid0(VALU_DEP_4) | instskip(NEXT) | instid1(VALU_DEP_4)
	v_add_f16_e64 v78, v205, v132
	v_add_f16_e64 v75, v75, v141
	v_fma_f16 v141, 0xbb9c, v227, v206
	v_fmac_f16_e64 v206, 0x3b9c, v227
	v_fma_f16 v228, -0.5, v228, v205
	v_add_f16_e64 v78, v78, v153
	v_add_f16_e64 v75, v75, v179
	s_delay_alu instid0(VALU_DEP_3) | instskip(NEXT) | instid1(VALU_DEP_3)
	v_fma_f16 v230, 0xbb9c, v229, v228
	v_add_f16_e64 v78, v78, v183
	s_delay_alu instid0(VALU_DEP_3)
	v_add_f16_e32 v75, v75, v94
	v_sub_f16_e64 v94, v179, v94
	v_fmac_f16_e64 v228, 0x3b9c, v229
	v_fmac_f16_e64 v230, 0xb8b4, v231
	v_add_f16_e32 v78, v78, v99
	v_add_f16_e64 v224, v75, v79
	v_add_f16_e32 v94, v116, v94
	v_sub_f16_e64 v116, v153, v132
	v_fmac_f16_e64 v228, 0x38b4, v231
	v_add_f16_e64 v225, v78, v218
	v_sub_f16_e32 v75, v75, v79
	v_sub_f16_e64 v78, v78, v218
	v_fmac_f16_e64 v230, 0x34f2, v209
	v_fmac_f16_e64 v228, 0x34f2, v209
	v_pack_b32_f16 v224, v224, v225
	v_sub_f16_e64 v225, v132, v99
	v_add_f16_e64 v132, v132, v99
	v_sub_f16_e64 v99, v183, v99
	v_pack_b32_f16 v75, v75, v78
	v_add_f16_e64 v235, v230, v221
	v_fmac_f16_e64 v141, 0x38b4, v225
	v_fmac_f16_e64 v206, 0xb8b4, v225
	v_fmac_f16_e64 v205, -0.5, v132
	v_fma_f16 v226, 0x3b9c, v225, v204
	v_fmac_f16_e64 v204, 0xbb9c, v225
	v_fmac_f16_e64 v141, 0x34f2, v94
	;; [unrolled: 1-line block ×3, first 2 shown]
	v_add_f16_e32 v94, v116, v99
	v_sub_f16_e32 v99, v104, v112
	v_fma_f16 v104, 0x3b9c, v231, v205
	v_fmac_f16_e64 v205, 0xbb9c, v231
	v_fmac_f16_e64 v204, 0xb8b4, v227
	;; [unrolled: 1-line block ×3, first 2 shown]
	v_add_f16_e32 v86, v95, v99
	v_fmac_f16_e64 v104, 0xb8b4, v229
	v_fmac_f16_e64 v205, 0x38b4, v229
	v_fma_f16 v95, 0xbb9c, v222, v81
	v_fmac_f16_e64 v81, 0x3b9c, v222
	v_fmac_f16_e64 v204, 0x34f2, v208
	v_fmac_f16_e32 v104, 0x34f2, v94
	v_fmac_f16_e64 v205, 0x34f2, v94
	v_add_f16_e32 v94, v90, v113
	v_sub_f16_e32 v90, v98, v90
	v_fmac_f16_e64 v95, 0x38b4, v220
	v_fmac_f16_e64 v81, 0xb8b4, v220
	;; [unrolled: 1-line block ×3, first 2 shown]
	v_fmac_f16_e32 v82, -0.5, v94
	v_sub_f16_e32 v94, v105, v113
	v_fmac_f16_e32 v95, 0x34f2, v86
	v_fmac_f16_e32 v81, 0x34f2, v86
	v_add_f16_e64 v232, v226, v223
	v_fma_f16 v99, 0x3b9c, v199, v80
	v_add_f16_e32 v86, v90, v94
	v_fma_f16 v90, 0x3b9c, v219, v82
	v_fmac_f16_e64 v82, 0xbb9c, v219
	v_mul_f16_e32 v94, 0xbb9c, v95
	v_pack_b32_f16 v232, v232, v235
	v_fmac_f16_e64 v99, 0x38b4, v194
	v_fmac_f16_e64 v90, 0xb8b4, v215
	;; [unrolled: 1-line block ×4, first 2 shown]
	ds_store_2addr_b32 v236, v224, v232 offset1:3
	v_lshlrev_b32_e32 v232, 2, v5
	v_fmac_f16_e32 v90, 0x34f2, v86
	v_fmac_f16_e32 v82, 0x34f2, v86
	v_fmac_f16_e64 v80, 0xb8b4, v194
	v_add_f16_e32 v5, v3, v9
	v_mov_b32_e32 v116, v24
	v_mul_f16_e32 v86, 0x3b9c, v90
	v_fmac_f16_e32 v94, 0x34f2, v90
	v_mul_f16_e32 v90, 0xb4f2, v81
	s_delay_alu instid0(VALU_DEP_3) | instskip(NEXT) | instid1(VALU_DEP_3)
	v_fmac_f16_e32 v86, 0x34f2, v95
	v_add_f16_e32 v95, v104, v94
	s_delay_alu instid0(VALU_DEP_3) | instskip(SKIP_1) | instid1(VALU_DEP_4)
	v_fmac_f16_e32 v90, 0x3b9c, v82
	v_mul_f16_e32 v82, 0xb4f2, v82
	v_sub_f16_e64 v78, v141, v86
	s_delay_alu instid0(VALU_DEP_2) | instskip(SKIP_2) | instid1(VALU_DEP_3)
	v_fmac_f16_e32 v82, 0xbb9c, v81
	v_add_f16_e64 v81, v141, v86
	v_sub_f16_e32 v86, v104, v94
	v_add_f16_e64 v98, v205, v82
	s_delay_alu instid0(VALU_DEP_3) | instskip(SKIP_1) | instid1(VALU_DEP_4)
	v_pack_b32_f16 v81, v81, v95
	v_add_f16_e64 v95, v206, v90
	v_pack_b32_f16 v78, v78, v86
	v_sub_f16_e64 v86, v117, v187
	s_delay_alu instid0(VALU_DEP_3) | instskip(SKIP_3) | instid1(VALU_DEP_2)
	v_pack_b32_f16 v95, v95, v98
	ds_store_2addr_b32 v236, v81, v95 offset0:6 offset1:9
	v_mul_f16_e64 v81, 0xba79, v212
	v_mul_f16_e64 v95, 0xba79, v214
	v_fmac_f16_e64 v81, 0x38b4, v214
	s_delay_alu instid0(VALU_DEP_2) | instskip(NEXT) | instid1(VALU_DEP_2)
	v_fmac_f16_e64 v95, 0xb8b4, v212
	v_add_f16_e64 v79, v204, v81
	s_delay_alu instid0(VALU_DEP_2) | instskip(NEXT) | instid1(VALU_DEP_1)
	v_add_f16_e64 v98, v228, v95
	v_pack_b32_f16 v79, v79, v98
	ds_store_2addr_b32 v236, v79, v75 offset0:12 offset1:15
	v_sub_f16_e64 v75, v226, v223
	v_sub_f16_e64 v79, v230, v221
	s_delay_alu instid0(VALU_DEP_1)
	v_pack_b32_f16 v75, v75, v79
	v_sub_f16_e64 v79, v205, v82
	v_sub_f16_e64 v82, v138, v175
	ds_store_2addr_b32 v236, v75, v78 offset0:18 offset1:21
	v_sub_f16_e64 v75, v206, v90
	v_add_f16_e32 v82, v82, v86
	v_add_f16_e64 v86, v189, v177
	v_sub_f16_e64 v90, v139, v177
	v_sub_f16_e64 v78, v204, v81
	;; [unrolled: 1-line block ×3, first 2 shown]
	v_pack_b32_f16 v75, v75, v79
	v_add_f16_e32 v86, v86, v84
	v_sub_f16_e64 v84, v140, v84
	v_sub_f16_e64 v79, v131, v115
	v_pack_b32_f16 v78, v78, v81
	v_sub_f16_e64 v81, v151, v181
	v_add_f16_e64 v86, v86, v140
	v_add_f16_e32 v84, v90, v84
	v_add_f16_e64 v90, v193, v85
	ds_store_2addr_b32 v236, v75, v78 offset0:24 offset1:27
	v_sub_f16_e64 v75, v131, v151
	v_sub_f16_e64 v78, v115, v181
	v_add_f16_e32 v85, v90, v89
	v_sub_f16_e64 v89, v130, v89
	v_fma_f16 v90, 0x3b9c, v198, v180
	s_delay_alu instid0(VALU_DEP_4)
	v_add_f16_e32 v75, v75, v78
	v_add_f16_e64 v78, v178, v151
	v_add_f16_e64 v85, v85, v130
	v_add_f16_e32 v83, v83, v89
	v_fma_f16 v89, 0xbb9c, v203, v191
	v_fmac_f16_e64 v90, 0x38b4, v196
	v_add_f16_e64 v78, v78, v181
	v_fmac_f16_e32 v99, 0x34f2, v75
	v_fmac_f16_e64 v180, 0xbb9c, v198
	v_fmac_f16_e64 v89, 0xb8b4, v200
	v_fmac_f16_e32 v90, 0x34f2, v84
	v_add_f16_e32 v78, v78, v115
	v_fmac_f16_e64 v191, 0x3b9c, v203
	v_fmac_f16_e64 v180, 0xb8b4, v196
	v_fmac_f16_e32 v89, 0x34f2, v83
	v_fmac_f16_e32 v80, 0x34f2, v75
	v_add_f16_e32 v95, v78, v86
	v_fmac_f16_e64 v191, 0x38b4, v200
	v_fmac_f16_e64 v180, 0x34f2, v84
	v_mul_f16_e32 v94, 0x38b4, v89
	v_sub_f16_e32 v78, v78, v86
	s_delay_alu instid0(VALU_DEP_4) | instskip(NEXT) | instid1(VALU_DEP_4)
	v_fmac_f16_e64 v191, 0x34f2, v83
	v_mul_f16_e64 v75, 0xba79, v180
	s_delay_alu instid0(VALU_DEP_4) | instskip(SKIP_1) | instid1(VALU_DEP_3)
	v_fmac_f16_e32 v94, 0x3a79, v90
	v_mul_f16_e32 v90, 0xb8b4, v90
	v_fmac_f16_e64 v75, 0x38b4, v191
	s_delay_alu instid0(VALU_DEP_3) | instskip(NEXT) | instid1(VALU_DEP_3)
	v_add_f16_e32 v105, v99, v94
	v_fmac_f16_e32 v90, 0x3a79, v89
	v_and_b32_e32 v89, 0xffff, v106
	s_delay_alu instid0(VALU_DEP_1) | instskip(NEXT) | instid1(VALU_DEP_1)
	v_mul_u32_u24_e32 v89, 30, v89
	v_add_lshl_u32 v235, v89, v107, 2
	v_add_f16_e64 v89, v176, v138
	s_delay_alu instid0(VALU_DEP_1) | instskip(NEXT) | instid1(VALU_DEP_1)
	v_add_f16_e64 v89, v89, v175
	v_add_f16_e64 v89, v89, v187
	s_delay_alu instid0(VALU_DEP_1) | instskip(NEXT) | instid1(VALU_DEP_1)
	v_add_f16_e32 v89, v89, v117
	v_add_f16_e32 v98, v89, v85
	s_delay_alu instid0(VALU_DEP_1) | instskip(SKIP_1) | instid1(VALU_DEP_1)
	v_pack_b32_f16 v95, v95, v98
	v_add_f16_e64 v98, v175, v187
	v_fma_f16 v98, -0.5, v98, v176
	s_delay_alu instid0(VALU_DEP_1) | instskip(SKIP_1) | instid1(VALU_DEP_2)
	v_fmamk_f16 v104, v79, 0xbb9c, v98
	v_fmac_f16_e32 v98, 0x3b9c, v79
	v_fmac_f16_e32 v104, 0xb8b4, v81
	s_delay_alu instid0(VALU_DEP_2) | instskip(NEXT) | instid1(VALU_DEP_2)
	v_fmac_f16_e32 v98, 0x38b4, v81
	v_fmac_f16_e32 v104, 0x34f2, v82
	s_delay_alu instid0(VALU_DEP_2) | instskip(SKIP_2) | instid1(VALU_DEP_4)
	v_fmac_f16_e32 v98, 0x34f2, v82
	v_add_f16_e32 v82, v80, v75
	v_sub_f16_e32 v75, v80, v75
	v_add_f16_e32 v106, v104, v90
	s_delay_alu instid0(VALU_DEP_1)
	v_pack_b32_f16 v105, v105, v106
	v_mul_f16_e64 v106, 0xbb9c, v197
	ds_store_2addr_b32 v235, v95, v105 offset1:3
	v_add_f16_e64 v95, v138, v117
	v_sub_f16_e64 v105, v187, v117
	v_fmac_f16_e64 v106, 0x34f2, v202
	s_delay_alu instid0(VALU_DEP_3) | instskip(SKIP_1) | instid1(VALU_DEP_1)
	v_fmac_f16_e64 v176, -0.5, v95
	v_sub_f16_e64 v95, v175, v138
	v_add_f16_e32 v95, v95, v105
	s_delay_alu instid0(VALU_DEP_3) | instskip(SKIP_2) | instid1(VALU_DEP_3)
	v_fma_f16 v105, 0x3b9c, v81, v176
	v_fmac_f16_e64 v176, 0xbb9c, v81
	v_sub_f16_e32 v81, v89, v85
	v_fmac_f16_e32 v105, 0xb8b4, v79
	s_delay_alu instid0(VALU_DEP_3) | instskip(SKIP_1) | instid1(VALU_DEP_4)
	v_fmac_f16_e64 v176, 0x38b4, v79
	v_mul_f16_e64 v79, 0xba79, v191
	v_pack_b32_f16 v78, v78, v81
	s_delay_alu instid0(VALU_DEP_4) | instskip(NEXT) | instid1(VALU_DEP_4)
	v_fmac_f16_e32 v105, 0x34f2, v95
	v_fmac_f16_e64 v176, 0x34f2, v95
	s_delay_alu instid0(VALU_DEP_4) | instskip(SKIP_1) | instid1(VALU_DEP_4)
	v_fmac_f16_e64 v79, 0xb8b4, v180
	v_mul_f16_e64 v95, 0x3b9c, v202
	v_add_f16_e32 v112, v105, v106
	s_delay_alu instid0(VALU_DEP_3) | instskip(NEXT) | instid1(VALU_DEP_3)
	v_add_f16_e32 v83, v98, v79
	v_fmac_f16_e64 v95, 0x34f2, v197
	s_delay_alu instid0(VALU_DEP_2) | instskip(NEXT) | instid1(VALU_DEP_2)
	v_pack_b32_f16 v82, v82, v83
	v_sub_f16_e64 v81, v195, v95
	v_sub_f16_e32 v83, v105, v106
	v_add_f16_e64 v107, v195, v95
	ds_store_2addr_b32 v235, v82, v78 offset0:12 offset1:15
	v_sub_f16_e32 v78, v99, v94
	v_sub_f16_e32 v82, v104, v90
	v_pack_b32_f16 v81, v81, v83
	v_pack_b32_f16 v107, v107, v112
	v_add_f16_e64 v112, v176, v77
	v_sub_f16_e64 v77, v176, v77
	v_pack_b32_f16 v78, v78, v82
	v_mov_b32_e32 v99, v34
	s_delay_alu instid0(VALU_DEP_4) | instskip(NEXT) | instid1(VALU_DEP_4)
	v_pack_b32_f16 v112, v207, v112
	v_pack_b32_f16 v76, v76, v77
	ds_store_2addr_b32 v235, v78, v81 offset0:18 offset1:21
	v_sub_f16_e32 v78, v98, v79
	v_mov_b32_e32 v98, v25
	ds_store_2addr_b32 v235, v107, v112 offset0:6 offset1:9
	v_pack_b32_f16 v75, v75, v78
	ds_store_2addr_b32 v235, v76, v75 offset0:24 offset1:27
	v_sub_f16_e32 v75, v53, v22
	v_sub_f16_e32 v76, v55, v23
	;; [unrolled: 1-line block ×7, first 2 shown]
	v_add_f16_e32 v75, v75, v76
	s_delay_alu instid0(VALU_DEP_3) | instskip(SKIP_4) | instid1(VALU_DEP_4)
	v_add_f16_e32 v23, v23, v55
	v_add_f16_e32 v55, v71, v68
	v_sub_f16_e32 v68, v70, v68
	v_fmamk_f16 v70, v48, 0x3b9c, v1
	v_fmac_f16_e32 v1, 0xbb9c, v48
	v_add_f16_e32 v55, v55, v67
	v_sub_f16_e32 v67, v69, v67
	s_delay_alu instid0(VALU_DEP_4) | instskip(NEXT) | instid1(VALU_DEP_4)
	v_fmac_f16_e32 v70, 0x38b4, v17
	v_fmac_f16_e32 v1, 0xb8b4, v17
	s_delay_alu instid0(VALU_DEP_4) | instskip(NEXT) | instid1(VALU_DEP_4)
	v_add_f16_e32 v55, v55, v69
	v_add_f16_e32 v67, v68, v67
	;; [unrolled: 1-line block ×3, first 2 shown]
	s_delay_alu instid0(VALU_DEP_4) | instskip(SKIP_1) | instid1(VALU_DEP_3)
	v_fmac_f16_e32 v1, 0x34f2, v75
	v_fmac_f16_e32 v70, 0x34f2, v75
	v_add_f16_e32 v63, v68, v64
	v_sub_f16_e32 v64, v66, v64
	s_delay_alu instid0(VALU_DEP_2) | instskip(NEXT) | instid1(VALU_DEP_2)
	v_add_f16_e32 v63, v63, v66
	v_add_f16_e32 v61, v61, v64
	v_fmamk_f16 v64, v54, 0xbb9c, v14
	v_fmamk_f16 v66, v56, 0x3b9c, v11
	v_fmac_f16_e32 v11, 0xbb9c, v56
	v_add_f16_e32 v69, v6, v63
	v_fmac_f16_e32 v14, 0x3b9c, v54
	v_fmac_f16_e32 v64, 0xb8b4, v21
	;; [unrolled: 1-line block ×4, first 2 shown]
	v_sub_f16_e32 v6, v6, v63
	v_fmac_f16_e32 v14, 0x38b4, v21
	v_fmac_f16_e32 v64, 0x34f2, v61
	v_fmac_f16_e32 v66, 0x34f2, v67
	v_fmac_f16_e32 v11, 0x34f2, v67
	s_delay_alu instid0(VALU_DEP_4) | instskip(NEXT) | instid1(VALU_DEP_4)
	v_fmac_f16_e32 v14, 0x34f2, v61
	v_mul_f16_e32 v68, 0x38b4, v64
	s_delay_alu instid0(VALU_DEP_1) | instskip(SKIP_1) | instid1(VALU_DEP_2)
	v_fmac_f16_e32 v68, 0x3a79, v66
	v_mul_f16_e32 v66, 0xb8b4, v66
	v_add_f16_e32 v72, v70, v68
	s_delay_alu instid0(VALU_DEP_2) | instskip(SKIP_1) | instid1(VALU_DEP_1)
	v_fmac_f16_e32 v66, 0x3a79, v64
	v_add_f16_e32 v64, v62, v55
	v_pack_b32_f16 v64, v64, v69
	v_add_f16_e32 v69, v4, v7
	v_sub_f16_e32 v4, v7, v9
	v_mul_f16_e32 v7, 0xb4f2, v10
	s_delay_alu instid0(VALU_DEP_3) | instskip(SKIP_1) | instid1(VALU_DEP_4)
	v_fma_f16 v69, -0.5, v69, v2
	v_fmac_f16_e32 v2, -0.5, v5
	v_add_f16_e32 v3, v3, v4
	v_mul_f16_e32 v5, 0xbb9c, v59
	v_fmac_f16_e32 v7, 0xbb9c, v16
	v_fmamk_f16 v71, v53, 0xbb9c, v69
	v_fmamk_f16 v4, v22, 0x3b9c, v2
	v_fmac_f16_e32 v2, 0xbb9c, v22
	v_fmac_f16_e32 v5, 0x34f2, v60
	;; [unrolled: 1-line block ×6, first 2 shown]
	s_delay_alu instid0(VALU_DEP_4) | instskip(NEXT) | instid1(VALU_DEP_4)
	v_fmac_f16_e32 v69, 0x38b4, v22
	v_fmac_f16_e32 v71, 0x34f2, v23
	s_delay_alu instid0(VALU_DEP_4) | instskip(NEXT) | instid1(VALU_DEP_4)
	v_fmac_f16_e32 v4, 0x34f2, v3
	v_fmac_f16_e32 v2, 0x34f2, v3
	v_mul_f16_e32 v3, 0x3b9c, v60
	v_fmac_f16_e32 v69, 0x34f2, v23
	v_add_f16_e32 v76, v71, v66
	v_add_f16_e32 v10, v4, v5
	v_sub_f16_e32 v4, v4, v5
	v_fmac_f16_e32 v3, 0x34f2, v59
	v_sub_nc_u16 v59, v93, v0
	v_pack_b32_f16 v72, v72, v76
	s_delay_alu instid0(VALU_DEP_3) | instskip(SKIP_1) | instid1(VALU_DEP_4)
	v_add_f16_e32 v9, v15, v3
	v_sub_f16_e32 v3, v15, v3
	v_mul_lo_u16 v0, v59, 36
	ds_store_2addr_b32 v232, v64, v72 offset1:3
	v_pack_b32_f16 v9, v9, v10
	v_add_f16_e32 v10, v2, v7
	v_pack_b32_f16 v3, v3, v4
	v_sub_f16_e32 v2, v2, v7
	v_and_b32_e32 v0, 0xffff, v0
	s_delay_alu instid0(VALU_DEP_4) | instskip(NEXT) | instid1(VALU_DEP_3)
	v_pack_b32_f16 v10, v65, v10
	v_pack_b32_f16 v2, v18, v2
	s_delay_alu instid0(VALU_DEP_3) | instskip(SKIP_3) | instid1(VALU_DEP_2)
	v_add_co_u32 v0, s2, s6, v0
	ds_store_2addr_b32 v232, v9, v10 offset0:6 offset1:9
	v_mul_f16_e32 v9, 0xba79, v11
	v_mul_f16_e32 v10, 0xba79, v14
	v_fmac_f16_e32 v9, 0x38b4, v14
	s_delay_alu instid0(VALU_DEP_2) | instskip(SKIP_1) | instid1(VALU_DEP_3)
	v_fmac_f16_e32 v10, 0xb8b4, v11
	v_sub_f16_e32 v11, v62, v55
	v_add_f16_e32 v13, v1, v9
	s_delay_alu instid0(VALU_DEP_3) | instskip(NEXT) | instid1(VALU_DEP_3)
	v_add_f16_e32 v14, v69, v10
	v_pack_b32_f16 v6, v11, v6
	v_sub_f16_e32 v11, v71, v66
	v_sub_f16_e32 v1, v1, v9
	s_delay_alu instid0(VALU_DEP_4) | instskip(SKIP_2) | instid1(VALU_DEP_1)
	v_pack_b32_f16 v13, v13, v14
	ds_store_2addr_b32 v232, v13, v6 offset0:12 offset1:15
	v_sub_f16_e32 v6, v70, v68
	v_pack_b32_f16 v5, v6, v11
	ds_store_2addr_b32 v232, v5, v3 offset0:18 offset1:21
	v_sub_f16_e32 v3, v69, v10
	s_delay_alu instid0(VALU_DEP_1)
	v_pack_b32_f16 v1, v1, v3
	ds_store_2addr_b32 v232, v2, v1 offset0:24 offset1:27
	v_add_co_ci_u32_e64 v1, null, s7, 0, s2
	s_waitcnt lgkmcnt(0)
	s_barrier
	buffer_gl0_inv
	s_clause 0x2
	global_load_b32 v175, v[0:1], off offset:140
	global_load_b128 v[237:240], v[0:1], off offset:108
	global_load_b128 v[196:199], v[0:1], off offset:124
	ds_load_2addr_b32 v[13:14], v25 offset0:108 offset1:198
	ds_load_2addr_b32 v[15:16], v162 offset0:80 offset1:170
	;; [unrolled: 1-line block ×10, first 2 shown]
	v_mov_b32_e32 v34, v27
	s_waitcnt lgkmcnt(9)
	v_lshrrev_b32_e32 v0, 16, v13
	s_waitcnt lgkmcnt(8)
	v_lshrrev_b32_e32 v5, 16, v16
	;; [unrolled: 2-line block ×7, first 2 shown]
	s_waitcnt vmcnt(2)
	v_lshrrev_b32_e32 v4, 16, v175
	s_waitcnt vmcnt(1)
	v_lshrrev_b32_e32 v1, 16, v240
	v_lshrrev_b32_e32 v2, 16, v238
	s_waitcnt vmcnt(0)
	v_lshrrev_b32_e32 v3, 16, v199
	s_delay_alu instid0(VALU_DEP_3) | instskip(NEXT) | instid1(VALU_DEP_3)
	v_mul_f16_e32 v54, v13, v1
	v_mul_f16_e32 v55, v15, v2
	s_delay_alu instid0(VALU_DEP_3) | instskip(NEXT) | instid1(VALU_DEP_3)
	v_mul_f16_e64 v61, v176, v3
	v_fmac_f16_e64 v54, v0, v240
	v_mul_f16_e32 v0, v0, v1
	v_lshrrev_b32_e32 v1, 16, v15
	s_delay_alu instid0(VALU_DEP_2) | instskip(NEXT) | instid1(VALU_DEP_2)
	v_fma_f16 v69, v13, v240, -v0
	v_fmac_f16_e64 v55, v1, v238
	v_mul_f16_e32 v1, v1, v2
	v_lshrrev_b32_e32 v2, 16, v197
	v_lshrrev_b32_e32 v0, 16, v17
	s_delay_alu instid0(VALU_DEP_3) | instskip(NEXT) | instid1(VALU_DEP_3)
	v_fma_f16 v85, v15, v238, -v1
	v_mul_f16_e32 v60, v17, v2
	s_delay_alu instid0(VALU_DEP_2) | instskip(NEXT) | instid1(VALU_DEP_2)
	v_add_f16_e64 v130, v180, v85
	v_fmac_f16_e64 v60, v0, v197
	v_mul_f16_e32 v0, v0, v2
	v_lshrrev_b32_e32 v2, 16, v176
	s_delay_alu instid0(VALU_DEP_3) | instskip(NEXT) | instid1(VALU_DEP_3)
	v_sub_f16_e32 v68, v54, v60
	v_fma_f16 v78, v17, v197, -v0
	s_delay_alu instid0(VALU_DEP_3) | instskip(SKIP_2) | instid1(VALU_DEP_4)
	v_fmac_f16_e64 v61, v2, v199
	v_mul_f16_e32 v2, v2, v3
	v_lshrrev_b32_e32 v3, 16, v239
	v_add_f16_e32 v0, v69, v78
	s_delay_alu instid0(VALU_DEP_4) | instskip(NEXT) | instid1(VALU_DEP_4)
	v_sub_f16_e32 v75, v55, v61
	v_fma_f16 v86, v176, v199, -v2
	v_lshrrev_b32_e32 v2, 16, v196
	v_mul_f16_e64 v131, v192, v3
	v_fma_f16 v52, -0.5, v0, v180
	s_delay_alu instid0(VALU_DEP_4) | instskip(SKIP_2) | instid1(VALU_DEP_3)
	v_add_f16_e32 v0, v85, v86
	v_sub_f16_e32 v1, v78, v86
	v_mul_f16_e64 v90, v179, v2
	v_fmac_f16_e64 v180, -0.5, v0
	v_sub_f16_e32 v0, v69, v85
	s_delay_alu instid0(VALU_DEP_2) | instskip(NEXT) | instid1(VALU_DEP_2)
	v_fma_f16 v66, 0xbb9c, v68, v180
	v_add_f16_e32 v64, v0, v1
	v_lshrrev_b32_e32 v1, 16, v237
	v_lshrrev_b32_e32 v0, 16, v188
	v_fmac_f16_e64 v180, 0x3b9c, v68
	v_fmac_f16_e32 v66, 0x38b4, v75
	s_delay_alu instid0(VALU_DEP_4) | instskip(NEXT) | instid1(VALU_DEP_3)
	v_mul_f16_e64 v62, v188, v1
	v_fmac_f16_e64 v180, 0xb8b4, v75
	s_delay_alu instid0(VALU_DEP_3) | instskip(NEXT) | instid1(VALU_DEP_3)
	v_fmac_f16_e32 v66, 0x34f2, v64
	v_fmac_f16_e64 v62, v0, v237
	v_mul_f16_e32 v0, v0, v1
	v_lshrrev_b32_e32 v1, 16, v179
	v_fmac_f16_e64 v180, 0x34f2, v64
	s_delay_alu instid0(VALU_DEP_3) | instskip(NEXT) | instid1(VALU_DEP_3)
	v_fma_f16 v67, v188, v237, -v0
	v_fmac_f16_e64 v90, v1, v196
	v_mul_f16_e32 v1, v1, v2
	v_lshrrev_b32_e32 v2, 16, v192
	s_delay_alu instid0(VALU_DEP_2) | instskip(NEXT) | instid1(VALU_DEP_2)
	v_fma_f16 v140, v179, v196, -v1
	v_fmac_f16_e64 v131, v2, v239
	v_mul_f16_e32 v2, v2, v3
	v_lshrrev_b32_e32 v3, 16, v198
	v_lshrrev_b32_e32 v1, 16, v194
	s_waitcnt lgkmcnt(0)
	v_mul_f16_e64 v179, v204, v4
	v_add_f16_e64 v183, v62, v131
	v_fma_f16 v142, v192, v239, -v2
	v_mul_f16_e64 v139, v194, v3
	s_delay_alu instid0(VALU_DEP_2) | instskip(NEXT) | instid1(VALU_DEP_2)
	v_add_f16_e64 v58, v67, v142
	v_fmac_f16_e64 v139, v1, v198
	v_mul_f16_e32 v1, v1, v3
	v_lshrrev_b32_e32 v3, 16, v204
	s_delay_alu instid0(VALU_DEP_3) | instskip(NEXT) | instid1(VALU_DEP_3)
	v_sub_f16_e64 v72, v90, v139
	v_fma_f16 v106, v194, v198, -v1
	s_delay_alu instid0(VALU_DEP_3) | instskip(SKIP_1) | instid1(VALU_DEP_3)
	v_fmac_f16_e64 v179, v3, v175
	v_mul_f16_e32 v3, v3, v4
	v_add_f16_e64 v0, v140, v106
	s_delay_alu instid0(VALU_DEP_3) | instskip(NEXT) | instid1(VALU_DEP_3)
	v_sub_f16_e64 v77, v131, v179
	v_fma_f16 v141, v204, v175, -v3
	v_lshrrev_b32_e32 v3, 16, v181
	v_sub_f16_e64 v76, v140, v106
	v_fma_f16 v63, -0.5, v0, v67
	s_delay_alu instid0(VALU_DEP_4) | instskip(SKIP_2) | instid1(VALU_DEP_3)
	v_add_f16_e64 v0, v142, v141
	v_sub_f16_e64 v1, v106, v141
	v_sub_f16_e64 v83, v142, v141
	v_fmac_f16_e32 v67, -0.5, v0
	v_sub_f16_e64 v0, v140, v142
	s_delay_alu instid0(VALU_DEP_2) | instskip(NEXT) | instid1(VALU_DEP_2)
	v_fmamk_f16 v89, v72, 0xbb9c, v67
	v_add_f16_e32 v71, v0, v1
	v_add_f16_e64 v0, v90, v139
	v_sub_f16_e64 v1, v139, v179
	v_fmac_f16_e32 v67, 0x3b9c, v72
	v_fmac_f16_e32 v89, 0x38b4, v77
	s_delay_alu instid0(VALU_DEP_4) | instskip(SKIP_1) | instid1(VALU_DEP_4)
	v_fma_f16 v65, -0.5, v0, v62
	v_add_f16_e64 v0, v131, v179
	v_fmac_f16_e32 v67, 0xb8b4, v77
	s_delay_alu instid0(VALU_DEP_4) | instskip(NEXT) | instid1(VALU_DEP_3)
	v_fmac_f16_e32 v89, 0x34f2, v71
	v_fmac_f16_e32 v62, -0.5, v0
	v_sub_f16_e64 v0, v90, v131
	s_delay_alu instid0(VALU_DEP_4) | instskip(NEXT) | instid1(VALU_DEP_3)
	v_fmac_f16_e32 v67, 0x34f2, v71
	v_fmamk_f16 v95, v76, 0x3b9c, v62
	s_delay_alu instid0(VALU_DEP_3)
	v_add_f16_e32 v84, v0, v1
	v_mul_lo_u16 v0, 0x89, v8
	v_lshrrev_b32_e32 v8, 16, v14
	v_fmac_f16_e32 v62, 0xbb9c, v76
	v_mul_f16_e32 v2, 0xb4f2, v67
	v_fmac_f16_e32 v95, 0xb8b4, v83
	v_lshrrev_b16 v26, 12, v0
	s_delay_alu instid0(VALU_DEP_4) | instskip(NEXT) | instid1(VALU_DEP_3)
	v_fmac_f16_e32 v62, 0x38b4, v83
	v_fmac_f16_e32 v95, 0x34f2, v84
	s_delay_alu instid0(VALU_DEP_3) | instskip(NEXT) | instid1(VALU_DEP_3)
	v_mul_lo_u16 v1, v26, 30
	v_fmac_f16_e32 v62, 0x34f2, v84
	s_delay_alu instid0(VALU_DEP_2) | instskip(NEXT) | instid1(VALU_DEP_2)
	v_sub_nc_u16 v1, v74, v1
	v_fmac_f16_e32 v2, 0x3b9c, v62
	s_delay_alu instid0(VALU_DEP_2) | instskip(NEXT) | instid1(VALU_DEP_2)
	v_and_b32_e32 v25, 0xff, v1
	v_add_f16_e64 v132, v180, v2
	v_sub_f16_e64 v70, v180, v2
	s_delay_alu instid0(VALU_DEP_3)
	v_mad_u64_u32 v[188:189], null, v25, 36, s[6:7]
	s_clause 0x2
	global_load_b128 v[79:82], v[188:189], off offset:108
	global_load_b128 v[155:158], v[188:189], off offset:124
	global_load_b32 v215, v[188:189], off offset:140
	s_waitcnt vmcnt(2)
	v_lshrrev_b32_e32 v138, 16, v79
	v_lshrrev_b32_e32 v205, 16, v81
	s_waitcnt vmcnt(1)
	v_lshrrev_b32_e32 v0, 16, v155
	v_lshrrev_b32_e32 v117, 16, v80
	;; [unrolled: 1-line block ×3, first 2 shown]
	v_mul_f16_e64 v4, v3, v138
	v_mul_f16_e64 v6, v5, v205
	v_mul_f16_e32 v9, v8, v0
	v_mul_f16_e32 v10, v14, v0
	v_lshrrev_b32_e32 v0, 16, v157
	v_fma_f16 v7, v181, v79, -v4
	v_mul_f16_e64 v4, v181, v138
	v_fma_f16 v21, v16, v81, -v6
	v_mul_f16_e64 v16, v16, v205
	v_mul_f16_e32 v13, v11, v0
	v_mul_f16_e64 v194, v18, v0
	v_fmac_f16_e32 v4, v3, v79
	v_mul_lo_u16 v3, 0x89, v12
	v_fmac_f16_e32 v16, v5, v81
	v_fma_f16 v192, v18, v157, -v13
	v_fmac_f16_e64 v10, v8, v155
	v_lshrrev_b32_e32 v8, 16, v177
	v_lshrrev_b16 v49, 12, v3
	v_fmac_f16_e64 v194, v11, v157
	v_fma_f16 v20, v14, v155, -v9
	s_delay_alu instid0(VALU_DEP_3) | instskip(NEXT) | instid1(VALU_DEP_3)
	v_mul_lo_u16 v5, v49, 30
	v_sub_f16_e64 v24, v10, v194
	s_delay_alu instid0(VALU_DEP_3) | instskip(NEXT) | instid1(VALU_DEP_3)
	v_sub_f16_e64 v28, v20, v192
	v_sub_nc_u16 v5, v96, v5
	s_delay_alu instid0(VALU_DEP_1) | instskip(NEXT) | instid1(VALU_DEP_1)
	v_and_b32_e32 v48, 0xff, v5
	v_mad_u64_u32 v[12:13], null, v48, 36, s[6:7]
	global_load_b128 v[112:115], v[12:13], off offset:108
	s_waitcnt vmcnt(1)
	v_lshrrev_b32_e32 v0, 16, v215
	s_delay_alu instid0(VALU_DEP_1) | instskip(SKIP_1) | instid1(VALU_DEP_2)
	v_mul_f16_e32 v11, v8, v0
	v_mul_f16_e64 v188, v177, v0
	v_fma_f16 v19, v177, v215, -v11
	s_delay_alu instid0(VALU_DEP_2) | instskip(SKIP_1) | instid1(VALU_DEP_3)
	v_fmac_f16_e64 v188, v8, v215
	v_lshrrev_b32_e32 v8, 16, v178
	v_sub_f16_e64 v185, v19, v192
	s_delay_alu instid0(VALU_DEP_3)
	v_sub_f16_e64 v167, v188, v194
	v_sub_f16_e64 v22, v16, v188
	s_waitcnt vmcnt(0)
	v_lshrrev_b32_e32 v0, 16, v112
	v_lshrrev_b32_e32 v224, 16, v113
	;; [unrolled: 1-line block ×3, first 2 shown]
	s_delay_alu instid0(VALU_DEP_3) | instskip(NEXT) | instid1(VALU_DEP_1)
	v_mul_f16_e32 v14, v94, v0
	v_fma_f16 v189, v187, v112, -v14
	ds_load_2addr_b32 v[14:15], v242 offset0:28 offset1:118
	v_mul_f16_e64 v187, v187, v0
	v_lshrrev_b32_e32 v0, 16, v114
	s_delay_alu instid0(VALU_DEP_2) | instskip(SKIP_4) | instid1(VALU_DEP_2)
	v_fmac_f16_e64 v187, v94, v112
	s_waitcnt lgkmcnt(0)
	v_lshrrev_b32_e32 v105, 16, v14
	v_mul_f16_e64 v195, v14, v117
	v_mul_f16_e64 v206, v15, v224
	v_fmac_f16_e64 v195, v105, v80
	v_mul_f16_e32 v105, v105, v117
	s_delay_alu instid0(VALU_DEP_1) | instskip(SKIP_1) | instid1(VALU_DEP_1)
	v_fma_f16 v200, v14, v80, -v105
	v_lshrrev_b32_e32 v105, 16, v15
	v_mul_f16_e64 v14, v105, v224
	v_fmac_f16_e64 v206, v105, v113
	s_delay_alu instid0(VALU_DEP_2) | instskip(SKIP_1) | instid1(VALU_DEP_1)
	v_fma_f16 v204, v15, v113, -v14
	v_mul_f16_e32 v14, v107, v0
	v_fma_f16 v207, v191, v114, -v14
	ds_load_2addr_b32 v[14:15], v128 offset0:56 offset1:146
	v_mul_f16_e64 v191, v191, v0
	v_add_f16_e64 v246, v189, v207
	s_delay_alu instid0(VALU_DEP_2) | instskip(SKIP_1) | instid1(VALU_DEP_2)
	v_fmac_f16_e64 v191, v107, v114
	v_lshrrev_b32_e32 v107, 16, v156
	v_add_f16_e64 v250, v187, v191
	s_waitcnt lgkmcnt(0)
	v_lshrrev_b32_e32 v177, 16, v14
	v_mul_f16_e64 v208, v14, v104
	v_mul_f16_e64 v211, v15, v202
	s_delay_alu instid0(VALU_DEP_2) | instskip(SKIP_1) | instid1(VALU_DEP_1)
	v_fmac_f16_e64 v208, v177, v82
	v_mul_f16_e64 v177, v177, v104
	v_fma_f16 v209, v14, v82, -v177
	v_lshrrev_b32_e32 v14, 16, v15
	s_delay_alu instid0(VALU_DEP_1) | instskip(SKIP_1) | instid1(VALU_DEP_2)
	v_mul_f16_e64 v177, v14, v202
	v_fmac_f16_e64 v211, v14, v115
	v_fma_f16 v210, v15, v115, -v177
	s_clause 0x1
	global_load_b32 v177, v[12:13], off offset:140
	global_load_b128 v[151:154], v[12:13], off offset:124
	ds_load_2addr_b32 v[180:181], v27 offset0:84 offset1:174
	v_sub_f16_e32 v27, v21, v19
	s_waitcnt lgkmcnt(0)
	v_mul_f16_e64 v218, v180, v107
	v_lshrrev_b32_e32 v220, 16, v181
	s_waitcnt vmcnt(0)
	v_lshrrev_b32_e32 v0, 16, v151
	v_lshrrev_b32_e32 v105, 16, v154
	s_delay_alu instid0(VALU_DEP_2) | instskip(SKIP_2) | instid1(VALU_DEP_3)
	v_mul_f16_e32 v94, v8, v0
	v_mul_f16_e64 v214, v178, v0
	v_lshrrev_b32_e32 v0, 16, v152
	v_fma_f16 v212, v178, v151, -v94
	v_lshrrev_b32_e32 v94, 16, v180
	s_delay_alu instid0(VALU_DEP_3) | instskip(SKIP_1) | instid1(VALU_DEP_3)
	v_mul_f16_e64 v222, v181, v0
	v_fmac_f16_e64 v214, v8, v151
	v_fmac_f16_e64 v218, v94, v156
	v_mul_f16_e32 v94, v94, v107
	s_delay_alu instid0(VALU_DEP_4) | instskip(NEXT) | instid1(VALU_DEP_3)
	v_fmac_f16_e64 v222, v220, v152
	v_add_f16_e64 v176, v208, v218
	s_delay_alu instid0(VALU_DEP_3) | instskip(SKIP_2) | instid1(VALU_DEP_3)
	v_fma_f16 v219, v180, v156, -v94
	v_mul_f16_e64 v94, v220, v0
	v_lshrrev_b32_e32 v0, 16, v153
	v_add_f16_e64 v14, v209, v219
	s_delay_alu instid0(VALU_DEP_3)
	v_fma_f16 v221, v181, v152, -v94
	ds_load_2addr_b32 v[180:181], v251 offset0:112 offset1:202
	v_mul_f16_e64 v178, v223, v0
	v_lshrrev_b32_e32 v94, 16, v158
	v_sub_f16_e64 v13, v209, v219
	v_add_f16_e64 v8, v210, v221
	s_delay_alu instid0(VALU_DEP_4) | instskip(SKIP_2) | instid1(VALU_DEP_3)
	v_fma_f16 v225, v193, v153, -v178
	v_mul_f16_e64 v193, v193, v0
	v_lshrrev_b32_e32 v0, 16, v177
	v_sub_f16_e64 v32, v212, v225
	s_delay_alu instid0(VALU_DEP_3) | instskip(NEXT) | instid1(VALU_DEP_1)
	v_fmac_f16_e64 v193, v223, v153
	v_sub_f16_e64 v33, v214, v193
	s_waitcnt lgkmcnt(0)
	v_lshrrev_b32_e32 v178, 16, v180
	v_mul_f16_e64 v226, v180, v94
	v_mul_f16_e64 v229, v181, v105
	s_delay_alu instid0(VALU_DEP_2) | instskip(SKIP_1) | instid1(VALU_DEP_2)
	v_fmac_f16_e64 v226, v178, v158
	v_mul_f16_e64 v178, v178, v94
	v_sub_f16_e64 v169, v226, v218
	s_delay_alu instid0(VALU_DEP_2) | instskip(SKIP_1) | instid1(VALU_DEP_2)
	v_fma_f16 v227, v180, v158, -v178
	v_lshrrev_b32_e32 v180, 16, v181
	v_sub_f16_e64 v174, v227, v219
	s_delay_alu instid0(VALU_DEP_2) | instskip(SKIP_3) | instid1(VALU_DEP_4)
	v_mul_f16_e64 v178, v180, v105
	v_fmac_f16_e64 v229, v180, v154
	v_add_f16_e64 v182, v200, v227
	v_sub_f16_e64 v12, v200, v227
	v_fma_f16 v228, v181, v154, -v178
	v_lshrrev_b32_e32 v181, 16, v203
	v_sub_f16_e64 v30, v206, v229
	s_delay_alu instid0(VALU_DEP_3) | instskip(NEXT) | instid1(VALU_DEP_3)
	v_add_f16_e64 v220, v204, v228
	v_mul_f16_e64 v230, v181, v0
	v_sub_f16_e64 v243, v221, v228
	s_delay_alu instid0(VALU_DEP_2) | instskip(SKIP_1) | instid1(VALU_DEP_2)
	v_fma_f16 v230, v203, v177, -v230
	v_mul_f16_e64 v203, v203, v0
	v_add_f16_e64 v244, v207, v230
	s_delay_alu instid0(VALU_DEP_2)
	v_fmac_f16_e64 v203, v181, v177
	ds_load_2addr_b32 v[180:181], v190 offset1:90
	v_sub_f16_e64 v248, v225, v230
	v_sub_f16_e64 v29, v207, v230
	s_waitcnt lgkmcnt(0)
	v_add_f16_e64 v249, v191, v203
	v_sub_f16_e64 v252, v193, v203
	v_sub_f16_e64 v31, v191, v203
	s_barrier
	buffer_gl0_inv
	v_fma_f16 v11, -0.5, v8, v181
	v_lshrrev_b32_e32 v223, 16, v181
	v_add_f16_e64 v231, v181, v204
	v_fmac_f16_e64 v181, -0.5, v220
	v_sub_f16_e64 v220, v210, v204
	v_fma_f16 v14, -0.5, v14, v180
	v_fma_f16 v182, -0.5, v182, v180
	v_lshrrev_b32_e32 v50, 16, v180
	v_add_f16_e64 v180, v180, v200
	v_add_f16_e64 v220, v220, v243
	;; [unrolled: 1-line block ×3, first 2 shown]
	s_delay_alu instid0(VALU_DEP_4) | instskip(NEXT) | instid1(VALU_DEP_2)
	v_fma_f16 v176, -0.5, v176, v50
	v_fma_f16 v243, -0.5, v243, v189
	v_fmac_f16_e64 v189, -0.5, v244
	v_sub_f16_e64 v244, v212, v207
	s_delay_alu instid0(VALU_DEP_4) | instskip(SKIP_1) | instid1(VALU_DEP_4)
	v_fma_f16 v2, 0xbb9c, v12, v176
	v_fmac_f16_e64 v176, 0x3b9c, v12
	v_fma_f16 v18, 0xbb9c, v33, v189
	s_delay_alu instid0(VALU_DEP_4)
	v_add_f16_e64 v244, v244, v248
	v_add_f16_e64 v248, v214, v193
	v_fmac_f16_e64 v189, 0x3b9c, v33
	v_fmac_f16_e32 v2, 0xb8b4, v13
	v_fmac_f16_e64 v176, 0x38b4, v13
	v_fmac_f16_e32 v18, 0x38b4, v31
	v_fma_f16 v248, -0.5, v248, v187
	v_fmac_f16_e64 v187, -0.5, v249
	v_sub_f16_e64 v249, v214, v191
	v_fmac_f16_e64 v189, 0xb8b4, v31
	v_fmac_f16_e64 v18, 0x34f2, v244
	s_delay_alu instid0(VALU_DEP_4) | instskip(NEXT) | instid1(VALU_DEP_4)
	v_fma_f16 v17, 0x3b9c, v32, v187
	v_add_f16_e64 v249, v249, v252
	v_sub_f16_e64 v252, v211, v222
	v_fmac_f16_e64 v187, 0xbb9c, v32
	v_fmac_f16_e64 v189, 0x34f2, v244
	v_fmac_f16_e32 v17, 0xb8b4, v29
	s_delay_alu instid0(VALU_DEP_4)
	v_fma_f16 v253, 0xbb9c, v252, v181
	v_fmac_f16_e64 v181, 0x3b9c, v252
	v_fmac_f16_e64 v187, 0x38b4, v29
	v_mul_f16_e64 v15, 0xb4f2, v189
	v_fmac_f16_e64 v17, 0x34f2, v249
	v_fmac_f16_e64 v253, 0x38b4, v30
	;; [unrolled: 1-line block ×4, first 2 shown]
	s_delay_alu instid0(VALU_DEP_3) | instskip(NEXT) | instid1(VALU_DEP_3)
	v_fmac_f16_e64 v253, 0x34f2, v220
	v_fmac_f16_e64 v181, 0x34f2, v220
	s_delay_alu instid0(VALU_DEP_3) | instskip(NEXT) | instid1(VALU_DEP_1)
	v_fmac_f16_e64 v15, 0x3b9c, v187
	v_add_f16_e64 v51, v181, v15
	v_sub_f16_e64 v56, v181, v15
	v_sub_f16_e64 v181, v200, v209
	;; [unrolled: 1-line block ×3, first 2 shown]
	s_delay_alu instid0(VALU_DEP_2) | instskip(SKIP_1) | instid1(VALU_DEP_1)
	v_add_f16_e64 v174, v181, v174
	v_sub_f16_e64 v181, v195, v208
	v_add_f16_e64 v169, v181, v169
	v_sub_f16_e64 v181, v21, v20
	s_delay_alu instid0(VALU_DEP_2) | instskip(NEXT) | instid1(VALU_DEP_2)
	v_fmac_f16_e64 v2, 0x34f2, v169
	v_add_f16_e64 v185, v181, v185
	v_sub_f16_e64 v181, v16, v10
	v_fmac_f16_e64 v176, 0x34f2, v169
	s_delay_alu instid0(VALU_DEP_2) | instskip(SKIP_1) | instid1(VALU_DEP_1)
	v_add_f16_e64 v167, v181, v167
	v_add_f16_e64 v181, v20, v192
	v_fma_f16 v1, -0.5, v181, v7
	v_add_f16_e64 v181, v10, v194
	s_delay_alu instid0(VALU_DEP_1) | instskip(NEXT) | instid1(VALU_DEP_3)
	v_fma_f16 v0, -0.5, v181, v4
	v_fma_f16 v181, 0x3b9c, v22, v1
	v_fmac_f16_e32 v1, 0xbb9c, v22
	s_delay_alu instid0(VALU_DEP_3) | instskip(NEXT) | instid1(VALU_DEP_3)
	v_fmamk_f16 v23, v27, 0xbb9c, v0
	v_fmac_f16_e64 v181, 0x38b4, v24
	v_fmac_f16_e32 v0, 0x3b9c, v27
	s_delay_alu instid0(VALU_DEP_4) | instskip(NEXT) | instid1(VALU_DEP_4)
	v_fmac_f16_e32 v1, 0xb8b4, v24
	v_fmac_f16_e32 v23, 0xb8b4, v28
	s_delay_alu instid0(VALU_DEP_4) | instskip(NEXT) | instid1(VALU_DEP_4)
	v_fmac_f16_e64 v181, 0x34f2, v185
	v_fmac_f16_e32 v0, 0x38b4, v28
	s_delay_alu instid0(VALU_DEP_4)
	v_fmac_f16_e64 v1, 0x34f2, v185
	v_mov_b32_e32 v185, v251
	v_fmac_f16_e64 v23, 0x34f2, v167
	v_mul_f16_e64 v8, 0xb8b4, v181
	v_fmac_f16_e64 v0, 0x34f2, v167
	v_mov_b32_e32 v167, v99
	s_delay_alu instid0(VALU_DEP_4) | instskip(NEXT) | instid1(VALU_DEP_4)
	v_mul_f16_e32 v9, 0x38b4, v23
	v_fmac_f16_e32 v8, 0x3a79, v23
	v_and_b32_e32 v23, 0xffff, v26
	v_add_f16_e32 v26, v7, v21
	s_delay_alu instid0(VALU_DEP_4) | instskip(NEXT) | instid1(VALU_DEP_4)
	v_fmac_f16_e64 v9, 0x3a79, v181
	v_add_f16_e64 v217, v2, v8
	s_delay_alu instid0(VALU_DEP_4) | instskip(NEXT) | instid1(VALU_DEP_4)
	v_mul_u32_u24_e32 v23, 0x12c, v23
	v_add_f16_e32 v26, v26, v20
	v_sub_f16_e32 v2, v2, v8
	v_sub_f16_e64 v8, v191, v214
	s_delay_alu instid0(VALU_DEP_4) | instskip(SKIP_4) | instid1(VALU_DEP_4)
	v_add_lshl_u32 v181, v23, v25, 2
	v_add_f16_e64 v23, v180, v209
	v_add_f16_e64 v25, v50, v195
	;; [unrolled: 1-line block ×5, first 2 shown]
	s_delay_alu instid0(VALU_DEP_4) | instskip(NEXT) | instid1(VALU_DEP_4)
	v_add_f16_e64 v25, v25, v208
	v_add_f16_e64 v180, v180, v10
	s_delay_alu instid0(VALU_DEP_4) | instskip(NEXT) | instid1(VALU_DEP_4)
	v_add_f16_e32 v26, v26, v19
	v_add_f16_e64 v23, v23, v227
	s_delay_alu instid0(VALU_DEP_4) | instskip(NEXT) | instid1(VALU_DEP_4)
	v_add_f16_e64 v25, v25, v218
	v_add_f16_e64 v180, v180, v194
	s_delay_alu instid0(VALU_DEP_3) | instskip(NEXT) | instid1(VALU_DEP_3)
	v_add_f16_e32 v3, v23, v26
	v_add_f16_e64 v25, v25, v226
	s_delay_alu instid0(VALU_DEP_3) | instskip(NEXT) | instid1(VALU_DEP_1)
	v_add_f16_e64 v180, v180, v188
	v_add_f16_e64 v178, v25, v180
	s_delay_alu instid0(VALU_DEP_1) | instskip(SKIP_1) | instid1(VALU_DEP_1)
	v_pack_b32_f16 v5, v3, v178
	v_sub_f16_e64 v178, v195, v226
	v_fma_f16 v3, 0x3b9c, v178, v14
	v_fmac_f16_e64 v14, 0xbb9c, v178
	s_delay_alu instid0(VALU_DEP_2) | instskip(NEXT) | instid1(VALU_DEP_2)
	v_fmac_f16_e32 v3, 0x38b4, v15
	v_fmac_f16_e32 v14, 0xb8b4, v15
	s_delay_alu instid0(VALU_DEP_2) | instskip(NEXT) | instid1(VALU_DEP_2)
	v_fmac_f16_e64 v3, 0x34f2, v174
	v_fmac_f16_e64 v14, 0x34f2, v174
	s_delay_alu instid0(VALU_DEP_2) | instskip(NEXT) | instid1(VALU_DEP_1)
	v_add_f16_e32 v6, v3, v9
	v_pack_b32_f16 v6, v6, v217
	ds_store_2addr_b32 v181, v5, v6 offset1:30
	v_sub_f16_e64 v5, v209, v200
	v_sub_f16_e64 v6, v219, v227
	;; [unrolled: 1-line block ×3, first 2 shown]
	s_delay_alu instid0(VALU_DEP_2) | instskip(SKIP_4) | instid1(VALU_DEP_3)
	v_add_f16_e32 v5, v5, v6
	v_sub_f16_e64 v6, v208, v195
	v_add_f16_e64 v195, v195, v226
	v_fma_f16 v208, 0xbb9c, v15, v182
	v_fmac_f16_e64 v182, 0x3b9c, v15
	v_fmac_f16_e64 v50, -0.5, v195
	s_delay_alu instid0(VALU_DEP_3) | instskip(NEXT) | instid1(VALU_DEP_3)
	v_fmac_f16_e64 v208, 0x38b4, v178
	v_fmac_f16_e64 v182, 0xb8b4, v178
	v_mov_b32_e32 v178, v116
	s_delay_alu instid0(VALU_DEP_3) | instskip(NEXT) | instid1(VALU_DEP_3)
	v_fmac_f16_e64 v208, 0x34f2, v5
	v_fmac_f16_e64 v182, 0x34f2, v5
	v_add_f16_e64 v5, v6, v200
	v_sub_f16_e32 v6, v20, v21
	v_add_f16_e32 v20, v21, v19
	v_fmamk_f16 v21, v13, 0x3b9c, v50
	v_fmac_f16_e32 v50, 0xbb9c, v13
	v_sub_f16_e64 v19, v192, v19
	s_delay_alu instid0(VALU_DEP_4) | instskip(NEXT) | instid1(VALU_DEP_4)
	v_fmac_f16_e32 v7, -0.5, v20
	v_fmac_f16_e32 v21, 0xb8b4, v12
	s_delay_alu instid0(VALU_DEP_4) | instskip(SKIP_1) | instid1(VALU_DEP_3)
	v_fmac_f16_e32 v50, 0x38b4, v12
	v_sub_f16_e64 v12, v25, v180
	v_fmac_f16_e32 v21, 0x34f2, v5
	s_delay_alu instid0(VALU_DEP_3) | instskip(SKIP_2) | instid1(VALU_DEP_1)
	v_fmac_f16_e32 v50, 0x34f2, v5
	v_add_f16_e32 v5, v6, v19
	v_add_f16_e64 v6, v16, v188
	v_fmac_f16_e32 v4, -0.5, v6
	v_sub_f16_e32 v6, v10, v16
	v_fmamk_f16 v16, v24, 0xbb9c, v7
	v_fmac_f16_e32 v7, 0x3b9c, v24
	v_sub_f16_e64 v10, v194, v188
	s_delay_alu instid0(VALU_DEP_3) | instskip(NEXT) | instid1(VALU_DEP_3)
	v_fmac_f16_e32 v16, 0x38b4, v22
	v_fmac_f16_e32 v7, 0xb8b4, v22
	s_delay_alu instid0(VALU_DEP_2) | instskip(NEXT) | instid1(VALU_DEP_2)
	v_fmac_f16_e32 v16, 0x34f2, v5
	v_fmac_f16_e32 v7, 0x34f2, v5
	v_add_f16_e32 v5, v6, v10
	v_fmamk_f16 v6, v28, 0x3b9c, v4
	v_fmac_f16_e32 v4, 0xbb9c, v28
	v_mul_f16_e32 v10, 0xbb9c, v16
	s_delay_alu instid0(VALU_DEP_3) | instskip(NEXT) | instid1(VALU_DEP_3)
	v_fmac_f16_e32 v6, 0xb8b4, v27
	v_fmac_f16_e32 v4, 0x38b4, v27
	s_delay_alu instid0(VALU_DEP_2) | instskip(NEXT) | instid1(VALU_DEP_2)
	v_fmac_f16_e32 v6, 0x34f2, v5
	v_fmac_f16_e32 v4, 0x34f2, v5
	s_delay_alu instid0(VALU_DEP_2) | instskip(SKIP_2) | instid1(VALU_DEP_3)
	v_mul_f16_e32 v5, 0x3b9c, v6
	v_fmac_f16_e32 v10, 0x34f2, v6
	v_mul_f16_e32 v6, 0xb4f2, v7
	v_fmac_f16_e32 v5, 0x34f2, v16
	s_delay_alu instid0(VALU_DEP_3) | instskip(NEXT) | instid1(VALU_DEP_3)
	v_add_f16_e32 v16, v21, v10
	v_fmac_f16_e32 v6, 0x3b9c, v4
	v_mul_f16_e32 v4, 0xb4f2, v4
	s_delay_alu instid0(VALU_DEP_1) | instskip(SKIP_1) | instid1(VALU_DEP_2)
	v_fmac_f16_e32 v4, 0xbb9c, v7
	v_add_f16_e64 v7, v208, v5
	v_add_f16_e32 v19, v50, v4
	s_delay_alu instid0(VALU_DEP_2) | instskip(SKIP_1) | instid1(VALU_DEP_1)
	v_pack_b32_f16 v7, v7, v16
	v_add_f16_e64 v16, v182, v6
	v_pack_b32_f16 v16, v16, v19
	ds_store_2addr_b32 v181, v7, v16 offset0:60 offset1:90
	v_mul_f16_e32 v7, 0xba79, v1
	s_delay_alu instid0(VALU_DEP_1) | instskip(SKIP_1) | instid1(VALU_DEP_2)
	v_fmac_f16_e32 v7, 0x38b4, v0
	v_mul_f16_e32 v0, 0xba79, v0
	v_add_f16_e32 v13, v14, v7
	s_delay_alu instid0(VALU_DEP_2) | instskip(SKIP_1) | instid1(VALU_DEP_2)
	v_fmac_f16_e32 v0, 0xb8b4, v1
	v_sub_f16_e32 v1, v23, v26
	v_add_f16_e64 v15, v176, v0
	s_delay_alu instid0(VALU_DEP_2) | instskip(SKIP_2) | instid1(VALU_DEP_4)
	v_pack_b32_f16 v1, v1, v12
	v_sub_f16_e64 v0, v176, v0
	v_mov_b32_e32 v176, v34
	v_pack_b32_f16 v13, v13, v15
	v_fmamk_f16 v15, v30, 0x3b9c, v11
	v_fmac_f16_e32 v11, 0xbb9c, v30
	ds_store_2addr_b32 v181, v13, v1 offset0:120 offset1:150
	v_sub_f16_e32 v1, v3, v9
	v_sub_f16_e64 v3, v208, v5
	v_sub_f16_e32 v5, v21, v10
	v_sub_f16_e64 v9, v203, v193
	v_fma_f16 v10, 0x3b9c, v31, v243
	v_pack_b32_f16 v1, v1, v2
	v_fmac_f16_e64 v15, 0x38b4, v252
	v_pack_b32_f16 v2, v3, v5
	v_add_f16_e32 v8, v8, v9
	v_fma_f16 v9, 0xbb9c, v29, v248
	v_fmac_f16_e32 v10, 0x38b4, v33
	v_sub_f16_e32 v3, v50, v4
	ds_store_2addr_b32 v181, v1, v2 offset0:180 offset1:210
	v_sub_f16_e64 v1, v182, v6
	v_sub_f16_e32 v2, v14, v7
	v_sub_f16_e64 v6, v207, v212
	v_sub_f16_e64 v7, v230, v225
	v_fmac_f16_e32 v9, 0xb8b4, v32
	v_pack_b32_f16 v1, v1, v3
	v_pack_b32_f16 v0, v2, v0
	v_add_nc_u32_e32 v2, 0x200, v181
	v_add_f16_e32 v6, v6, v7
	v_fmac_f16_e32 v9, 0x34f2, v8
	v_sub_f16_e64 v4, v206, v211
	v_sub_f16_e64 v5, v229, v222
	ds_store_2addr_b32 v2, v1, v0 offset0:112 offset1:142
	v_fmac_f16_e32 v10, 0x34f2, v6
	v_mul_f16_e32 v12, 0x38b4, v9
	v_sub_f16_e64 v0, v204, v210
	v_sub_f16_e64 v1, v228, v221
	v_add_f16_e32 v4, v4, v5
	v_add_f16_e64 v5, v246, v212
	v_fmac_f16_e32 v12, 0x3a79, v10
	v_mul_f16_e32 v10, 0xb8b4, v10
	v_add_f16_e32 v0, v0, v1
	v_add_f16_e64 v1, v231, v210
	v_add_f16_e64 v7, v250, v214
	;; [unrolled: 1-line block ×3, first 2 shown]
	v_fmac_f16_e32 v10, 0x3a79, v9
	v_and_b32_e32 v9, 0xffff, v49
	v_add_f16_e64 v1, v1, v221
	v_add_f16_e64 v7, v7, v193
	;; [unrolled: 1-line block ×3, first 2 shown]
	scratch_store_b32 off, v2, off offset:268 ; 4-byte Folded Spill
	v_mul_u32_u24_e32 v9, 0x12c, v9
	v_add_f16_e64 v1, v1, v228
	v_add_f16_e64 v7, v7, v203
	v_sub_f16_e64 v2, v204, v228
	v_sub_f16_e64 v3, v210, v221
	v_add_lshl_u32 v180, v9, v48, 2
	v_add_f16_e64 v9, v223, v206
	v_add_f16_e32 v13, v1, v5
	v_fmac_f16_e32 v15, 0x34f2, v0
	v_fmac_f16_e64 v243, 0xbb9c, v31
	v_fmac_f16_e64 v248, 0x3b9c, v29
	v_add_f16_e64 v9, v9, v211
	v_fmac_f16_e64 v11, 0xb8b4, v252
	v_add_f16_e32 v19, v15, v12
	v_fmac_f16_e64 v243, 0xb8b4, v33
	v_fmac_f16_e64 v248, 0x38b4, v32
	v_add_f16_e64 v9, v9, v222
	v_fmac_f16_e32 v11, 0x34f2, v0
	v_sub_f16_e32 v1, v1, v5
	v_fmac_f16_e64 v243, 0x34f2, v6
	v_fmac_f16_e64 v248, 0x34f2, v8
	v_add_f16_e64 v9, v9, v229
	v_sub_f16_e64 v6, v142, v140
	v_sub_f16_e64 v8, v131, v90
	v_mul_f16_e64 v0, 0xba79, v243
	v_add_nc_u32_e32 v32, 0xe00, v190
	v_add_f16_e32 v14, v9, v7
	s_delay_alu instid0(VALU_DEP_3) | instskip(NEXT) | instid1(VALU_DEP_2)
	v_fmac_f16_e64 v0, 0x38b4, v248
	v_pack_b32_f16 v13, v13, v14
	v_add_f16_e64 v14, v211, v222
	s_delay_alu instid0(VALU_DEP_1) | instskip(NEXT) | instid1(VALU_DEP_1)
	v_fma_f16 v14, -0.5, v14, v223
	v_fmamk_f16 v16, v2, 0xbb9c, v14
	v_fmac_f16_e32 v14, 0x3b9c, v2
	s_delay_alu instid0(VALU_DEP_2) | instskip(NEXT) | instid1(VALU_DEP_2)
	v_fmac_f16_e32 v16, 0xb8b4, v3
	v_fmac_f16_e32 v14, 0x38b4, v3
	s_delay_alu instid0(VALU_DEP_2) | instskip(NEXT) | instid1(VALU_DEP_2)
	v_fmac_f16_e32 v16, 0x34f2, v4
	v_fmac_f16_e32 v14, 0x34f2, v4
	v_add_f16_e32 v4, v11, v0
	v_sub_f16_e32 v0, v11, v0
	s_delay_alu instid0(VALU_DEP_4) | instskip(NEXT) | instid1(VALU_DEP_1)
	v_add_f16_e32 v20, v16, v10
	v_pack_b32_f16 v19, v19, v20
	ds_store_2addr_b32 v180, v13, v19 offset1:30
	v_add_f16_e64 v13, v206, v229
	v_sub_f16_e64 v19, v222, v229
	s_delay_alu instid0(VALU_DEP_2) | instskip(SKIP_1) | instid1(VALU_DEP_1)
	v_fmac_f16_e64 v223, -0.5, v13
	v_sub_f16_e64 v13, v211, v206
	v_add_f16_e32 v13, v13, v19
	s_delay_alu instid0(VALU_DEP_3)
	v_fma_f16 v19, 0x3b9c, v3, v223
	v_fmac_f16_e64 v223, 0xbb9c, v3
	v_sub_f16_e32 v3, v9, v7
	v_sub_f16_e64 v7, v141, v106
	v_sub_f16_e64 v9, v179, v139
	v_fmac_f16_e32 v19, 0xb8b4, v2
	v_fmac_f16_e64 v223, 0x38b4, v2
	v_mul_f16_e64 v2, 0xba79, v248
	v_pack_b32_f16 v1, v1, v3
	v_add_f16_e32 v6, v6, v7
	v_fmac_f16_e32 v19, 0x34f2, v13
	v_fmac_f16_e64 v223, 0x34f2, v13
	v_mul_f16_e32 v13, 0x3b9c, v17
	v_fmac_f16_e64 v2, 0xb8b4, v243
	v_add_f16_e64 v7, v183, v90
	v_add_f16_e32 v8, v8, v9
	v_fmamk_f16 v9, v83, 0xbb9c, v65
	v_fmac_f16_e32 v13, 0x34f2, v18
	v_mul_f16_e32 v18, 0xbb9c, v18
	v_add_f16_e32 v5, v14, v2
	v_sub_f16_e32 v2, v14, v2
	v_add_f16_e64 v7, v7, v139
	v_sub_f16_e64 v3, v253, v13
	v_fmac_f16_e32 v18, 0x34f2, v17
	v_pack_b32_f16 v4, v4, v5
	v_mul_f16_e64 v17, 0xb4f2, v187
	v_pack_b32_f16 v0, v0, v2
	v_add_nc_u32_e32 v2, 0x200, v180
	v_sub_f16_e32 v5, v19, v18
	ds_store_2addr_b32 v180, v4, v1 offset0:120 offset1:150
	v_sub_f16_e32 v1, v15, v12
	v_sub_f16_e32 v4, v16, v10
	v_fmac_f16_e64 v17, 0xbb9c, v189
	v_pack_b32_f16 v3, v3, v5
	v_sub_f16_e32 v5, v61, v60
	v_add_f16_e32 v12, v53, v55
	v_pack_b32_f16 v1, v1, v4
	v_sub_f16_e32 v4, v55, v54
	v_add_f16_e64 v7, v7, v179
	v_add_f16_e64 v20, v253, v13
	v_add_f16_e32 v12, v12, v54
	ds_store_2addr_b32 v180, v1, v3 offset0:180 offset1:210
	v_sub_f16_e64 v1, v223, v17
	v_add_f16_e32 v4, v4, v5
	v_add_f16_e64 v5, v58, v140
	v_add_f16_e32 v12, v12, v60
	v_fmac_f16_e32 v9, 0xb8b4, v76
	v_pack_b32_f16 v1, v56, v1
	v_fmamk_f16 v10, v77, 0x3b9c, v63
	v_add_f16_e32 v5, v5, v106
	v_add_f16_e32 v12, v12, v61
	scratch_store_b32 off, v2, off offset:264 ; 4-byte Folded Spill
	ds_store_2addr_b32 v2, v1, v0 offset0:112 offset1:142
	v_sub_f16_e32 v0, v85, v69
	v_sub_f16_e32 v1, v86, v78
	v_add_f16_e64 v5, v5, v141
	v_add_f16_e32 v14, v12, v7
	v_sub_f16_e32 v2, v85, v86
	v_fmac_f16_e32 v10, 0x38b4, v72
	v_add_f16_e32 v0, v0, v1
	v_add_f16_e64 v1, v130, v69
	v_fmac_f16_e32 v9, 0x34f2, v8
	v_sub_f16_e32 v3, v69, v78
	v_fmac_f16_e32 v10, 0x34f2, v6
	v_fmamk_f16 v15, v75, 0x3b9c, v52
	v_add_f16_e32 v1, v1, v78
	v_mul_f16_e32 v11, 0x38b4, v9
	v_add_f16_e32 v21, v19, v18
	v_fmac_f16_e32 v63, 0xbb9c, v77
	v_fmac_f16_e32 v15, 0x38b4, v68
	v_add_f16_e32 v1, v1, v86
	v_fmac_f16_e32 v11, 0x3a79, v10
	v_mul_f16_e32 v10, 0xb8b4, v10
	v_pack_b32_f16 v20, v20, v21
	v_fmac_f16_e32 v15, 0x34f2, v0
	v_add_f16_e32 v13, v1, v5
	v_add_f16_e64 v21, v223, v17
	v_fmac_f16_e32 v10, 0x3a79, v9
	v_mad_u16 v9, 0x12c, v57, v59
	v_add_f16_e32 v17, v15, v11
	v_pack_b32_f16 v13, v13, v14
	v_add_f16_e32 v14, v54, v60
	v_pack_b32_f16 v21, v51, v21
	v_and_b32_e32 v9, 0xffff, v9
	v_fmac_f16_e32 v65, 0x3b9c, v83
	v_fmac_f16_e32 v52, 0xbb9c, v75
	v_fma_f16 v14, -0.5, v14, v53
	ds_store_2addr_b32 v180, v20, v21 offset0:60 offset1:90
	v_lshlrev_b32_e32 v179, 2, v9
	v_add_f16_e32 v9, v55, v61
	v_fmac_f16_e32 v63, 0xb8b4, v72
	v_fmamk_f16 v16, v2, 0xbb9c, v14
	v_fmac_f16_e32 v65, 0x38b4, v76
	v_fmac_f16_e32 v14, 0x3b9c, v2
	v_fmac_f16_e32 v53, -0.5, v9
	v_sub_f16_e32 v9, v54, v55
	v_fmac_f16_e32 v16, 0xb8b4, v3
	v_fmac_f16_e32 v52, 0xb8b4, v68
	;; [unrolled: 1-line block ×7, first 2 shown]
	v_mul_f16_e32 v0, 0xba79, v63
	v_sub_f16_e32 v1, v1, v5
	v_fmac_f16_e32 v14, 0x34f2, v4
	v_add_f16_e32 v18, v16, v10
	v_lshlrev_b32_e32 v75, 3, v96
	v_fmac_f16_e32 v0, 0x38b4, v65
	v_lshlrev_b32_e32 v83, 3, v93
	s_delay_alu instid0(VALU_DEP_4) | instskip(SKIP_1) | instid1(VALU_DEP_4)
	v_pack_b32_f16 v17, v17, v18
	v_mul_f16_e32 v18, 0xb4f2, v62
	v_add_f16_e32 v4, v52, v0
	v_sub_f16_e32 v0, v52, v0
	ds_store_2addr_b32 v179, v13, v17 offset1:30
	v_sub_f16_e32 v13, v60, v61
	v_mul_f16_e32 v17, 0xbb9c, v89
	v_fmac_f16_e32 v18, 0xbb9c, v67
	s_delay_alu instid0(VALU_DEP_3) | instskip(SKIP_4) | instid1(VALU_DEP_4)
	v_add_f16_e32 v9, v9, v13
	v_fmamk_f16 v13, v3, 0x3b9c, v53
	v_fmac_f16_e32 v53, 0xbb9c, v3
	v_sub_f16_e32 v3, v12, v7
	v_fmac_f16_e32 v17, 0x34f2, v95
	v_fmac_f16_e32 v13, 0xb8b4, v2
	s_delay_alu instid0(VALU_DEP_4) | instskip(SKIP_2) | instid1(VALU_DEP_4)
	v_fmac_f16_e32 v53, 0x38b4, v2
	v_mul_f16_e32 v2, 0xba79, v65
	v_pack_b32_f16 v1, v1, v3
	v_fmac_f16_e32 v13, 0x34f2, v9
	s_delay_alu instid0(VALU_DEP_4) | instskip(NEXT) | instid1(VALU_DEP_4)
	v_fmac_f16_e32 v53, 0x34f2, v9
	v_fmac_f16_e32 v2, 0xb8b4, v63
	v_mul_f16_e32 v9, 0x3b9c, v95
	v_mov_b32_e32 v95, v98
	v_add_f16_e32 v20, v13, v17
	s_delay_alu instid0(VALU_DEP_4) | instskip(NEXT) | instid1(VALU_DEP_4)
	v_add_f16_e32 v5, v14, v2
	v_fmac_f16_e32 v9, 0x34f2, v89
	v_sub_f16_e32 v2, v14, v2
	s_delay_alu instid0(VALU_DEP_3) | instskip(NEXT) | instid1(VALU_DEP_3)
	v_pack_b32_f16 v4, v4, v5
	v_sub_f16_e32 v3, v66, v9
	v_sub_f16_e32 v5, v13, v17
	s_delay_alu instid0(VALU_DEP_4)
	v_pack_b32_f16 v0, v0, v2
	v_add_nc_u32_e32 v2, 0x200, v179
	ds_store_2addr_b32 v179, v4, v1 offset0:120 offset1:150
	v_sub_f16_e32 v1, v15, v11
	v_sub_f16_e32 v4, v16, v10
	v_pack_b32_f16 v3, v3, v5
	v_add_f16_e32 v19, v66, v9
	scratch_store_b32 off, v2, off offset:260 ; 4-byte Folded Spill
	v_pack_b32_f16 v1, v1, v4
	v_pack_b32_f16 v19, v19, v20
	v_add_f16_e32 v20, v53, v18
	ds_store_2addr_b32 v179, v1, v3 offset0:180 offset1:210
	v_sub_f16_e32 v1, v53, v18
	v_pack_b32_f16 v20, v132, v20
	s_delay_alu instid0(VALU_DEP_2) | instskip(SKIP_3) | instid1(VALU_DEP_1)
	v_pack_b32_f16 v1, v70, v1
	ds_store_2addr_b32 v179, v19, v20 offset0:60 offset1:90
	ds_store_2addr_b32 v2, v1, v0 offset0:112 offset1:142
	v_add_co_u32 v0, s2, 0xffffffe2, v159
	v_add_co_ci_u32_e64 v1, null, 0, -1, s2
	s_waitcnt lgkmcnt(0)
	s_waitcnt_vscnt null, 0x0
	s_delay_alu instid0(VALU_DEP_2)
	v_cndmask_b32_e32 v71, v0, v100, vcc_lo
	s_barrier
	v_cndmask_b32_e32 v72, v1, v73, vcc_lo
	buffer_gl0_inv
	v_lshlrev_b64 v[51:52], 3, v[71:72]
	v_lshlrev_b32_e32 v72, 3, v159
	s_delay_alu instid0(VALU_DEP_2) | instskip(NEXT) | instid1(VALU_DEP_3)
	v_add_co_u32 v67, vcc_lo, s6, v51
	v_add_co_ci_u32_e32 v68, vcc_lo, s7, v52, vcc_lo
	s_clause 0x3
	global_load_b64 v[51:52], v72, s[6:7] offset:1188
	global_load_b64 v[55:56], v72, s[6:7] offset:1668
	;; [unrolled: 1-line block ×4, first 2 shown]
	ds_load_2addr_b32 v[59:60], v35 offset0:132 offset1:222
	ds_load_2addr_b32 v[76:77], v190 offset1:90
	v_cmp_lt_u16_e32 vcc_lo, 29, v74
	s_waitcnt lgkmcnt(1)
	v_lshrrev_b32_e32 v0, 16, v59
	v_lshrrev_b32_e32 v2, 16, v60
	s_waitcnt lgkmcnt(0)
	v_lshrrev_b32_e32 v10, 16, v76
	s_waitcnt vmcnt(3)
	v_lshrrev_b32_e32 v193, 16, v51
	v_lshrrev_b32_e32 v195, 16, v52
	s_waitcnt vmcnt(2)
	v_lshrrev_b32_e32 v209, 16, v55
	s_waitcnt vmcnt(0)
	v_lshrrev_b32_e32 v192, 16, v63
	v_lshrrev_b32_e32 v194, 16, v64
	v_mul_f16_e64 v1, v59, v193
	v_lshrrev_b32_e32 v210, 16, v56
	v_lshrrev_b32_e32 v207, 16, v53
	v_mul_f16_e64 v3, v2, v192
	v_mul_f16_e64 v4, v60, v192
	v_fmac_f16_e32 v1, v0, v51
	v_mul_f16_e64 v0, v0, v193
	v_lshrrev_b32_e32 v208, 16, v54
	v_fma_f16 v3, v60, v63, -v3
	v_fmac_f16_e32 v4, v2, v63
	v_add_f16_e32 v12, v10, v1
	v_fma_f16 v0, v59, v51, -v0
	ds_load_2addr_b32 v[59:60], v163 offset0:8 offset1:98
	s_waitcnt lgkmcnt(0)
	v_lshrrev_b32_e32 v5, 16, v59
	v_mul_f16_e64 v6, v59, v195
	v_lshrrev_b32_e32 v7, 16, v60
	v_mul_f16_e64 v9, v60, v194
	s_delay_alu instid0(VALU_DEP_3) | instskip(SKIP_1) | instid1(VALU_DEP_4)
	v_fmac_f16_e32 v6, v5, v52
	v_mul_f16_e64 v5, v5, v195
	v_mul_f16_e64 v8, v7, v194
	s_delay_alu instid0(VALU_DEP_4) | instskip(NEXT) | instid1(VALU_DEP_4)
	v_fmac_f16_e32 v9, v7, v64
	v_add_f16_e32 v11, v1, v6
	s_delay_alu instid0(VALU_DEP_4) | instskip(SKIP_2) | instid1(VALU_DEP_4)
	v_fma_f16 v5, v59, v52, -v5
	v_sub_f16_e32 v1, v1, v6
	v_fma_f16 v8, v60, v64, -v8
	v_fmac_f16_e32 v10, -0.5, v11
	v_add_f16_e32 v11, v76, v0
	v_add_f16_e32 v13, v0, v5
	v_sub_f16_e32 v0, v0, v5
	s_delay_alu instid0(VALU_DEP_3) | instskip(NEXT) | instid1(VALU_DEP_3)
	v_add_f16_e32 v11, v11, v5
	v_fma_f16 v5, -0.5, v13, v76
	s_delay_alu instid0(VALU_DEP_1) | instskip(SKIP_4) | instid1(VALU_DEP_3)
	v_fmamk_f16 v13, v1, 0x3aee, v5
	v_fmac_f16_e32 v5, 0xbaee, v1
	v_add_f16_e32 v1, v12, v6
	v_fmamk_f16 v6, v0, 0xbaee, v10
	v_fmac_f16_e32 v10, 0x3aee, v0
	v_pack_b32_f16 v0, v11, v1
	s_delay_alu instid0(VALU_DEP_3) | instskip(SKIP_1) | instid1(VALU_DEP_4)
	v_pack_b32_f16 v1, v13, v6
	v_lshrrev_b32_e32 v6, 16, v77
	v_pack_b32_f16 v2, v5, v10
	v_add_f16_e32 v5, v77, v3
	v_lshrrev_b16 v10, 2, v233
	v_lshrrev_b16 v11, 2, v88
	v_add_f16_e32 v7, v6, v4
	v_lshrrev_b16 v13, 2, v87
	v_add_f16_e32 v5, v5, v8
	v_and_b32_e32 v10, 0xffff, v10
	v_and_b32_e32 v11, 0xffff, v11
	v_add_f16_e32 v7, v7, v9
	v_and_b32_e32 v13, 0xffff, v13
	s_delay_alu instid0(VALU_DEP_4) | instskip(NEXT) | instid1(VALU_DEP_4)
	v_mul_u32_u24_e32 v10, 0x6d3b, v10
	v_mul_u32_u24_e32 v11, 0x6d3b, v11
	s_delay_alu instid0(VALU_DEP_4) | instskip(SKIP_4) | instid1(VALU_DEP_4)
	v_pack_b32_f16 v5, v5, v7
	v_lshrrev_b16 v7, 2, v216
	v_mul_u32_u24_e32 v13, 0x6d3b, v13
	v_lshrrev_b32_e32 v10, 21, v10
	v_lshrrev_b32_e32 v11, 21, v11
	v_and_b32_e32 v7, 0xffff, v7
	s_delay_alu instid0(VALU_DEP_4) | instskip(NEXT) | instid1(VALU_DEP_4)
	v_lshrrev_b32_e32 v13, 21, v13
	v_mul_lo_u16 v12, 0x12c, v10
	s_delay_alu instid0(VALU_DEP_4) | instskip(NEXT) | instid1(VALU_DEP_4)
	v_mul_lo_u16 v11, 0x12c, v11
	v_mul_u32_u24_e32 v7, 0x6d3b, v7
	s_delay_alu instid0(VALU_DEP_4) | instskip(NEXT) | instid1(VALU_DEP_4)
	v_mul_lo_u16 v13, 0x12c, v13
	v_sub_nc_u16 v12, v233, v12
	s_delay_alu instid0(VALU_DEP_4) | instskip(NEXT) | instid1(VALU_DEP_4)
	v_sub_nc_u16 v11, v88, v11
	v_lshrrev_b32_e32 v7, 21, v7
	s_delay_alu instid0(VALU_DEP_4) | instskip(NEXT) | instid1(VALU_DEP_4)
	v_sub_nc_u16 v13, v87, v13
	v_lshlrev_b16 v14, 3, v12
	v_mad_u16 v10, 0x384, v10, v12
	s_delay_alu instid0(VALU_DEP_4) | instskip(NEXT) | instid1(VALU_DEP_3)
	v_mul_lo_u16 v7, 0x12c, v7
	v_and_b32_e32 v14, 0xffff, v14
	s_delay_alu instid0(VALU_DEP_2) | instskip(NEXT) | instid1(VALU_DEP_2)
	v_sub_nc_u16 v7, v216, v7
	v_add_co_u32 v59, s2, s6, v14
	v_lshlrev_b16 v14, 3, v11
	s_delay_alu instid0(VALU_DEP_3) | instskip(SKIP_2) | instid1(VALU_DEP_4)
	v_lshlrev_b16 v15, 3, v7
	v_add_co_ci_u32_e64 v60, null, s7, 0, s2
	v_and_b32_e32 v7, 0xffff, v7
	v_and_b32_e32 v14, 0xffff, v14
	s_delay_alu instid0(VALU_DEP_4) | instskip(NEXT) | instid1(VALU_DEP_3)
	v_and_b32_e32 v15, 0xffff, v15
	v_lshlrev_b32_e32 v189, 2, v7
	s_delay_alu instid0(VALU_DEP_2) | instskip(SKIP_3) | instid1(VALU_DEP_3)
	v_add_co_u32 v61, s2, s6, v15
	v_lshlrev_b16 v15, 3, v13
	v_add_co_ci_u32_e64 v62, null, s7, 0, s2
	v_add_co_u32 v69, s2, s6, v14
	v_and_b32_e32 v15, 0xffff, v15
	v_add_co_ci_u32_e64 v70, null, s7, 0, s2
	s_delay_alu instid0(VALU_DEP_2) | instskip(NEXT) | instid1(VALU_DEP_1)
	v_add_co_u32 v84, s2, s6, v15
	v_add_co_ci_u32_e64 v85, null, s7, 0, s2
	s_clause 0x5
	global_load_b64 v[65:66], v[59:60], off offset:1188
	global_load_b64 v[61:62], v[61:62], off offset:1188
	global_load_b64 v[59:60], v[69:70], off offset:1188
	global_load_b64 v[57:58], v[84:85], off offset:1188
	global_load_b64 v[67:68], v[67:68], off offset:1188
	global_load_b64 v[69:70], v83, s[6:7] offset:1188
	ds_load_2addr_b32 v[84:85], v255 offset0:52 offset1:142
	ds_load_2addr_b32 v[89:90], v128 offset0:56 offset1:146
	;; [unrolled: 1-line block ×12, first 2 shown]
	s_waitcnt vmcnt(0) lgkmcnt(0)
	s_barrier
	buffer_gl0_inv
	ds_store_b32 v190, v1 offset:1200
	ds_store_b32 v190, v2 offset:2400
	ds_store_2addr_b32 v190, v0, v5 offset1:90
	v_add_f16_e32 v0, v3, v8
	v_sub_f16_e32 v1, v4, v9
	s_delay_alu instid0(VALU_DEP_2)
	v_fmac_f16_e32 v77, -0.5, v0
	v_add_f16_e32 v0, v4, v9
	v_lshrrev_b32_e32 v5, 16, v130
	v_mul_f16_e64 v16, v141, v209
	v_lshrrev_b32_e32 v18, 16, v187
	v_fmamk_f16 v2, v1, 0x3aee, v77
	v_fmac_f16_e32 v6, -0.5, v0
	v_sub_f16_e32 v0, v3, v8
	v_fmac_f16_e32 v77, 0xbaee, v1
	v_lshrrev_b32_e32 v3, 16, v89
	v_lshrrev_b32_e32 v8, 16, v84
	v_mul_f16_e64 v19, v18, v210
	v_fmamk_f16 v1, v0, 0xbaee, v6
	v_fmac_f16_e32 v6, 0x3aee, v0
	v_mul_f16_e64 v22, v187, v210
	v_mul_f16_e64 v17, v142, v207
	v_fma_f16 v19, v187, v56, -v19
	v_pack_b32_f16 v1, v2, v1
	v_pack_b32_f16 v0, v77, v6
	v_lshrrev_b32_e32 v20, 16, v188
	v_fmac_f16_e32 v22, v18, v56
	v_mul_f16_e64 v23, v188, v208
	s_delay_alu instid0(VALU_DEP_3) | instskip(NEXT) | instid1(VALU_DEP_2)
	v_mul_f16_e64 v21, v20, v208
	v_fmac_f16_e32 v23, v20, v54
	v_lshrrev_b32_e32 v20, 16, v243
	s_delay_alu instid0(VALU_DEP_3)
	v_fma_f16 v21, v188, v54, -v21
	v_lshrrev_b32_e32 v226, 16, v65
	v_lshrrev_b32_e32 v221, 16, v61
	;; [unrolled: 1-line block ×9, first 2 shown]
	s_delay_alu instid0(VALU_DEP_4) | instskip(NEXT) | instid1(VALU_DEP_4)
	v_mul_f16_e64 v4, v89, v203
	v_mul_f16_e64 v6, v130, v200
	s_delay_alu instid0(VALU_DEP_2) | instskip(NEXT) | instid1(VALU_DEP_2)
	v_fmac_f16_e32 v4, v3, v69
	v_fmac_f16_e32 v6, v5, v70
	v_mul_f16_e64 v3, v3, v203
	v_mul_f16_e64 v5, v5, v200
	s_delay_alu instid0(VALU_DEP_4) | instskip(NEXT) | instid1(VALU_DEP_4)
	v_add_f16_e32 v9, v8, v4
	v_add_f16_e32 v14, v4, v6
	s_delay_alu instid0(VALU_DEP_4) | instskip(NEXT) | instid1(VALU_DEP_4)
	v_fma_f16 v3, v89, v69, -v3
	v_fma_f16 v5, v130, v70, -v5
	v_sub_f16_e32 v4, v4, v6
	v_add_f16_e32 v6, v9, v6
	v_fmac_f16_e32 v8, -0.5, v14
	v_add_f16_e32 v9, v84, v3
	v_add_f16_e32 v14, v3, v5
	v_sub_f16_e32 v3, v3, v5
	s_delay_alu instid0(VALU_DEP_3) | instskip(NEXT) | instid1(VALU_DEP_3)
	v_add_f16_e32 v9, v9, v5
	v_fma_f16 v5, -0.5, v14, v84
	v_lshrrev_b32_e32 v14, 16, v142
	s_delay_alu instid0(VALU_DEP_3) | instskip(NEXT) | instid1(VALU_DEP_3)
	v_pack_b32_f16 v2, v9, v6
	v_fmamk_f16 v6, v4, 0x3aee, v5
	v_fmamk_f16 v9, v3, 0xbaee, v8
	v_fmac_f16_e32 v5, 0xbaee, v4
	v_fmac_f16_e32 v8, 0x3aee, v3
	v_lshrrev_b32_e32 v3, 16, v131
	v_mul_f16_e64 v15, v14, v207
	v_pack_b32_f16 v6, v6, v9
	ds_store_b32 v190, v2 offset:720
	ds_store_2addr_b32 v135, v1, v6 offset0:134 offset1:224
	v_pack_b32_f16 v1, v5, v8
	v_mul_f16_e64 v4, v3, v204
	v_mul_f16_e64 v2, v90, v206
	;; [unrolled: 1-line block ×3, first 2 shown]
	v_fma_f16 v15, v142, v53, -v15
	ds_store_2addr_b32 v162, v0, v1 offset0:50 offset1:140
	v_cndmask_b32_e64 v0, 0, 0x384, vcc_lo
	v_fma_f16 v4, v131, v68, -v4
	v_fmac_f16_e32 v5, v3, v68
	v_lshrrev_b32_e32 v3, 16, v85
	v_fmac_f16_e32 v17, v14, v53
	v_add_lshl_u32 v183, v71, v0, 2
	v_lshrrev_b32_e32 v0, 16, v90
	v_add_co_u32 v49, vcc_lo, 0x2a30, v170
	v_add_co_ci_u32_e32 v50, vcc_lo, 0, v171, vcc_lo
	s_delay_alu instid0(VALU_DEP_3) | instskip(SKIP_1) | instid1(VALU_DEP_2)
	v_mul_f16_e64 v1, v0, v206
	v_fmac_f16_e32 v2, v0, v67
	v_fma_f16 v1, v90, v67, -v1
	s_delay_alu instid0(VALU_DEP_1) | instskip(SKIP_1) | instid1(VALU_DEP_2)
	v_add_f16_e32 v0, v1, v4
	v_add_f16_e32 v6, v85, v1
	v_fmac_f16_e32 v85, -0.5, v0
	v_sub_f16_e32 v0, v2, v5
	s_delay_alu instid0(VALU_DEP_1) | instskip(SKIP_3) | instid1(VALU_DEP_2)
	v_fmamk_f16 v8, v0, 0x3aee, v85
	v_fmac_f16_e32 v85, 0xbaee, v0
	v_add_f16_e32 v0, v2, v5
	v_add_f16_e32 v2, v3, v2
	v_fmac_f16_e32 v3, -0.5, v0
	v_sub_f16_e32 v0, v1, v4
	v_add_f16_e32 v4, v6, v4
	s_delay_alu instid0(VALU_DEP_4) | instskip(SKIP_1) | instid1(VALU_DEP_4)
	v_add_f16_e32 v2, v2, v5
	v_lshrrev_b32_e32 v6, 16, v140
	v_fmamk_f16 v1, v0, 0xbaee, v3
	v_fmac_f16_e32 v3, 0x3aee, v0
	s_delay_alu instid0(VALU_DEP_4) | instskip(SKIP_1) | instid1(VALU_DEP_4)
	v_pack_b32_f16 v2, v4, v2
	v_lshrrev_b32_e32 v4, 16, v139
	v_pack_b32_f16 v1, v8, v1
	s_delay_alu instid0(VALU_DEP_4)
	v_pack_b32_f16 v0, v85, v3
	v_lshrrev_b32_e32 v3, 16, v141
	v_add_f16_e32 v8, v6, v17
	ds_store_b32 v183, v2
	ds_store_b32 v183, v1 offset:1200
	ds_store_b32 v183, v0 offset:2400
	v_mul_f16_e64 v9, v3, v209
	v_fmac_f16_e32 v16, v3, v55
	v_add_f16_e32 v8, v8, v23
	s_delay_alu instid0(VALU_DEP_3) | instskip(NEXT) | instid1(VALU_DEP_3)
	v_fma_f16 v9, v141, v55, -v9
	v_add_f16_e32 v5, v4, v16
	v_add_f16_e32 v0, v16, v22
	v_sub_f16_e32 v1, v16, v22
	v_lshrrev_b32_e32 v16, 16, v231
	v_add_f16_e64 v3, v139, v9
	v_add_f16_e32 v5, v5, v22
	v_fmac_f16_e32 v4, -0.5, v0
	v_add_f16_e32 v0, v9, v19
	v_sub_f16_e32 v2, v9, v19
	v_add_f16_e32 v3, v3, v19
	v_mul_f16_e64 v19, v231, v214
	v_lshrrev_b32_e32 v22, 16, v244
	v_fma_f16 v0, -0.5, v0, v139
	v_fmamk_f16 v9, v2, 0xbaee, v4
	v_pack_b32_f16 v3, v3, v5
	v_add_f16_e64 v5, v140, v15
	v_fmac_f16_e32 v4, 0x3aee, v2
	v_lshrrev_b32_e32 v2, 16, v219
	v_fmac_f16_e32 v19, v16, v57
	s_delay_alu instid0(VALU_DEP_4) | instskip(NEXT) | instid1(VALU_DEP_1)
	v_add_f16_e32 v5, v5, v21
	v_pack_b32_f16 v5, v5, v8
	v_fmamk_f16 v8, v1, 0x3aee, v0
	v_fmac_f16_e32 v0, 0xbaee, v1
	ds_store_2addr_b32 v32, v3, v5 offset0:64 offset1:154
	v_add_f16_e32 v3, v15, v21
	v_sub_f16_e32 v5, v17, v23
	v_pack_b32_f16 v8, v8, v9
	v_pack_b32_f16 v0, v0, v4
	v_mul_f16_e64 v4, v218, v226
	v_fmac_f16_e64 v140, -0.5, v3
	v_add_f16_e32 v3, v17, v23
	v_mul_f16_e64 v17, v16, v214
	s_delay_alu instid0(VALU_DEP_3) | instskip(NEXT) | instid1(VALU_DEP_3)
	v_fma_f16 v9, 0x3aee, v5, v140
	v_fmac_f16_e32 v6, -0.5, v3
	v_sub_f16_e32 v3, v15, v21
	v_fmac_f16_e64 v140, 0xbaee, v5
	v_mul_f16_e64 v5, v219, v221
	v_fma_f16 v17, v231, v57, -v17
	s_delay_alu instid0(VALU_DEP_4) | instskip(SKIP_1) | instid1(VALU_DEP_4)
	v_fmamk_f16 v14, v3, 0xbaee, v6
	v_fmac_f16_e32 v6, 0x3aee, v3
	v_fmac_f16_e32 v5, v2, v61
	s_delay_alu instid0(VALU_DEP_3) | instskip(NEXT) | instid1(VALU_DEP_3)
	v_pack_b32_f16 v9, v9, v14
	v_pack_b32_f16 v3, v140, v6
	v_lshrrev_b32_e32 v6, 16, v223
	v_lshrrev_b32_e32 v14, 16, v230
	ds_store_2addr_b32 v98, v8, v9 offset0:108 offset1:198
	ds_store_2addr_b32 v34, v0, v3 offset0:24 offset1:114
	v_lshrrev_b32_e32 v0, 16, v218
	v_mul_f16_e64 v3, v2, v221
	v_mul_f16_e64 v2, v222, v227
	v_mul_f16_e64 v8, v6, v225
	v_mul_f16_e64 v9, v223, v225
	v_mul_f16_e64 v1, v0, v226
	v_fmac_f16_e32 v4, v0, v65
	v_lshrrev_b32_e32 v0, 16, v222
	v_fma_f16 v3, v219, v61, -v3
	v_fma_f16 v8, v223, v62, -v8
	v_lshrrev_b32_e32 v223, 16, v60
	v_fmac_f16_e32 v9, v6, v62
	v_fmac_f16_e32 v2, v0, v66
	v_mul_f16_e64 v0, v0, v227
	v_add_f16_e32 v6, v3, v8
	v_mul_f16_e64 v24, v243, v223
	v_add_f16_e64 v16, v212, v3
	v_fma_f16 v1, v218, v65, -v1
	v_fma_f16 v0, v222, v66, -v0
	v_lshrrev_b32_e32 v222, 16, v59
	v_mul_f16_e64 v21, v20, v223
	v_lshrrev_b32_e32 v218, 16, v58
	v_fmac_f16_e32 v24, v20, v60
	v_sub_f16_e32 v3, v3, v8
	v_mul_f16_e64 v18, v230, v222
	v_mul_f16_e64 v15, v14, v222
	;; [unrolled: 1-line block ×4, first 2 shown]
	v_add_f16_e64 v26, v211, v1
	v_fmac_f16_e32 v18, v14, v59
	v_lshrrev_b32_e32 v14, 16, v212
	v_fmac_f16_e64 v212, -0.5, v6
	v_sub_f16_e32 v6, v5, v9
	v_fmac_f16_e32 v25, v22, v58
	v_lshrrev_b32_e32 v22, 16, v211
	v_add_f16_e32 v27, v4, v2
	v_fma_f16 v23, v244, v58, -v23
	v_fma_f16 v20, 0x3aee, v6, v212
	v_fmac_f16_e64 v212, 0xbaee, v6
	v_add_f16_e32 v6, v5, v9
	v_add_f16_e32 v5, v14, v5
	;; [unrolled: 1-line block ×3, first 2 shown]
	v_fmac_f16_e32 v22, -0.5, v27
	v_add_f16_e32 v26, v26, v0
	v_fmac_f16_e32 v14, -0.5, v6
	v_add_f16_e32 v5, v5, v9
	v_lshrrev_b32_e32 v9, 16, v229
	v_fma_f16 v15, v230, v59, -v15
	v_fma_f16 v21, v243, v60, -v21
	v_fmamk_f16 v6, v3, 0xbaee, v14
	v_fmac_f16_e32 v14, 0x3aee, v3
	v_add_f16_e32 v3, v1, v0
	v_sub_f16_e32 v0, v1, v0
	v_sub_f16_e32 v1, v4, v2
	v_add_f16_e32 v30, v18, v24
	v_add_f16_e64 v29, v228, v15
	v_fma_f16 v3, -0.5, v3, v211
	v_pack_b32_f16 v14, v212, v14
	s_delay_alu instid0(VALU_DEP_3) | instskip(NEXT) | instid1(VALU_DEP_3)
	v_add_f16_e32 v29, v29, v21
	v_fmamk_f16 v4, v1, 0x3aee, v3
	v_fmac_f16_e32 v3, 0xbaee, v1
	v_add_f16_e32 v1, v28, v2
	v_fmamk_f16 v2, v0, 0xbaee, v22
	v_fmac_f16_e32 v22, 0x3aee, v0
	v_add_f16_e32 v0, v16, v8
	v_add_f16_e32 v8, v17, v23
	v_add_f16_e64 v16, v229, v17
	v_pack_b32_f16 v2, v4, v2
	v_and_b32_e32 v4, 0xffff, v10
	v_pack_b32_f16 v1, v26, v1
	v_fmac_f16_e64 v229, -0.5, v8
	v_sub_f16_e32 v8, v19, v25
	v_pack_b32_f16 v3, v3, v22
	v_lshlrev_b32_e32 v191, 2, v4
	v_lshrrev_b32_e32 v28, 16, v228
	v_pack_b32_f16 v0, v0, v5
	v_fma_f16 v27, 0x3aee, v8, v229
	v_fmac_f16_e64 v229, 0xbaee, v8
	v_add_f16_e32 v8, v19, v25
	v_add_f16_e32 v19, v9, v19
	ds_store_b32 v191, v1
	ds_store_b32 v191, v2 offset:1200
	ds_store_b32 v191, v3 offset:2400
	v_pack_b32_f16 v1, v20, v6
	v_add_f16_e32 v31, v28, v18
	v_fmac_f16_e32 v9, -0.5, v8
	v_sub_f16_e32 v8, v17, v23
	v_fmac_f16_e32 v28, -0.5, v30
	v_sub_f16_e32 v18, v18, v24
	ds_store_b32 v189, v0 offset:7200
	ds_store_b32 v189, v1 offset:8400
	v_and_b32_e32 v0, 0xffff, v11
	v_fmamk_f16 v17, v8, 0xbaee, v9
	v_fmac_f16_e32 v9, 0x3aee, v8
	v_add_f16_e32 v8, v15, v21
	v_sub_f16_e32 v15, v15, v21
	v_add_f16_e32 v12, v19, v25
	v_lshlrev_b32_e32 v187, 2, v0
	v_and_b32_e32 v0, 0xffff, v13
	v_fma_f16 v8, -0.5, v8, v228
	v_pack_b32_f16 v6, v27, v17
	v_pack_b32_f16 v9, v229, v9
	v_mov_b32_e32 v30, v32
	v_lshlrev_b32_e32 v188, 2, v0
	v_fmamk_f16 v21, v18, 0x3aee, v8
	v_fmac_f16_e32 v8, 0xbaee, v18
	v_add_f16_e32 v18, v31, v24
	v_fmamk_f16 v24, v15, 0xbaee, v28
	v_fmac_f16_e32 v28, 0x3aee, v15
	v_add_f16_e32 v15, v16, v23
	v_lshlrev_b32_e32 v0, 3, v100
	v_pack_b32_f16 v2, v29, v18
	v_pack_b32_f16 v3, v21, v24
	;; [unrolled: 1-line block ×4, first 2 shown]
	ds_store_b32 v189, v14 offset:9600
	ds_store_b32 v187, v2 offset:7200
	;; [unrolled: 1-line block ×7, first 2 shown]
	s_waitcnt lgkmcnt(0)
	s_barrier
	buffer_gl0_inv
	s_clause 0x3
	global_load_b64 v[77:78], v72, s[6:7] offset:3588
	global_load_b64 v[75:76], v75, s[6:7] offset:3588
	;; [unrolled: 1-line block ×4, first 2 shown]
	ds_load_2addr_b32 v[83:84], v35 offset0:132 offset1:222
	v_add_nc_u32_e32 v31, 0x2200, v190
	s_waitcnt lgkmcnt(0)
	v_lshrrev_b32_e32 v0, 16, v83
	v_lshrrev_b32_e32 v2, 16, v84
	s_waitcnt vmcnt(3)
	v_lshrrev_b32_e32 v219, 16, v77
	s_waitcnt vmcnt(2)
	v_lshrrev_b32_e32 v211, 16, v75
	v_lshrrev_b32_e32 v220, 16, v78
	;; [unrolled: 1-line block ×3, first 2 shown]
	s_waitcnt vmcnt(1)
	v_lshrrev_b32_e32 v229, 16, v73
	v_mul_f16_e64 v1, v83, v219
	v_mul_f16_e64 v3, v2, v211
	;; [unrolled: 1-line block ×3, first 2 shown]
	v_lshrrev_b32_e32 v228, 16, v74
	s_waitcnt vmcnt(0)
	v_lshrrev_b32_e32 v231, 16, v71
	v_fmac_f16_e32 v1, v0, v77
	v_mul_f16_e64 v0, v0, v219
	v_fma_f16 v12, v84, v75, -v3
	v_fmac_f16_e32 v13, v2, v75
	v_lshrrev_b32_e32 v230, 16, v72
	s_delay_alu instid0(VALU_DEP_4)
	v_fma_f16 v0, v83, v77, -v0
	ds_load_2addr_b32 v[83:84], v163 offset0:8 offset1:98
	s_waitcnt lgkmcnt(0)
	v_lshrrev_b32_e32 v3, 16, v83
	v_mul_f16_e64 v4, v83, v220
	v_lshrrev_b32_e32 v5, 16, v84
	v_mul_f16_e64 v15, v84, v212
	s_delay_alu instid0(VALU_DEP_3) | instskip(SKIP_1) | instid1(VALU_DEP_4)
	v_fmac_f16_e32 v4, v3, v78
	v_mul_f16_e64 v3, v3, v220
	v_mul_f16_e64 v6, v5, v212
	s_delay_alu instid0(VALU_DEP_4) | instskip(NEXT) | instid1(VALU_DEP_4)
	v_fmac_f16_e32 v15, v5, v76
	v_sub_f16_e32 v7, v1, v4
	s_delay_alu instid0(VALU_DEP_4) | instskip(NEXT) | instid1(VALU_DEP_4)
	v_fma_f16 v3, v83, v78, -v3
	v_fma_f16 v14, v84, v76, -v6
	ds_load_2addr_b32 v[83:84], v190 offset1:90
	v_add_f16_e32 v9, v1, v4
	v_add_f16_e32 v6, v0, v3
	s_waitcnt lgkmcnt(0)
	s_delay_alu instid0(VALU_DEP_1) | instskip(SKIP_1) | instid1(VALU_DEP_2)
	v_fma_f16 v6, -0.5, v6, v83
	v_lshrrev_b32_e32 v17, 16, v84
	v_fmamk_f16 v8, v7, 0x3aee, v6
	v_fmac_f16_e32 v6, 0xbaee, v7
	v_lshrrev_b32_e32 v7, 16, v83
	s_delay_alu instid0(VALU_DEP_1) | instskip(SKIP_3) | instid1(VALU_DEP_4)
	v_add_f16_e32 v1, v7, v1
	v_fmac_f16_e32 v7, -0.5, v9
	v_sub_f16_e32 v9, v0, v3
	v_add_f16_e32 v0, v83, v0
	v_add_f16_e32 v1, v1, v4
	s_delay_alu instid0(VALU_DEP_3) | instskip(NEXT) | instid1(VALU_DEP_3)
	v_fmamk_f16 v10, v9, 0xbaee, v7
	v_add_f16_e32 v0, v0, v3
	v_fmac_f16_e32 v7, 0x3aee, v9
	s_delay_alu instid0(VALU_DEP_3) | instskip(NEXT) | instid1(VALU_DEP_3)
	v_pack_b32_f16 v3, v8, v10
	v_pack_b32_f16 v16, v0, v1
	v_add_f16_e32 v0, v84, v12
	v_add_f16_e32 v1, v17, v13
	v_pack_b32_f16 v4, v6, v7
	ds_store_b32 v190, v3 offset:3600
	ds_store_b32 v190, v4 offset:7200
	v_add_f16_e32 v0, v0, v14
	v_add_f16_e32 v1, v1, v15
	s_delay_alu instid0(VALU_DEP_1)
	v_pack_b32_f16 v18, v0, v1
	ds_load_2addr_b32 v[85:86], v255 offset0:52 offset1:142
	ds_load_2addr_b32 v[89:90], v128 offset0:56 offset1:146
	ds_load_2addr_b32 v[130:131], v97 offset0:60 offset1:150
	ds_load_2addr_b32 v[139:140], v135 offset0:104 offset1:194
	ds_load_2addr_b32 v[141:142], v98 offset0:108 offset1:198
	ds_load_2addr_b32 v[248:249], v251 offset0:112 offset1:202
	ds_load_2addr_b32 v[0:1], v242 offset0:28 offset1:118
	ds_load_2addr_b32 v[4:5], v241 offset0:160 offset1:250
	ds_load_2addr_b32 v[6:7], v116 offset0:36 offset1:126
	ds_load_2addr_b32 v[2:3], v162 offset0:80 offset1:170
	ds_load_2addr_b32 v[8:9], v34 offset0:84 offset1:174
	ds_load_2addr_b32 v[10:11], v99 offset0:88 offset1:178
	ds_store_2addr_b32 v190, v16, v18 offset1:90
	v_add_f16_e32 v16, v12, v14
	v_sub_f16_e32 v12, v12, v14
	s_delay_alu instid0(VALU_DEP_2)
	v_fmac_f16_e32 v84, -0.5, v16
	v_add_f16_e32 v16, v13, v15
	v_sub_f16_e32 v13, v13, v15
	s_waitcnt lgkmcnt(12)
	v_lshrrev_b32_e32 v19, 16, v85
	s_waitcnt lgkmcnt(11)
	v_lshrrev_b32_e32 v15, 16, v89
	s_waitcnt lgkmcnt(10)
	v_mul_f16_e64 v18, v130, v228
	v_fmac_f16_e32 v17, -0.5, v16
	v_fmamk_f16 v14, v13, 0x3aee, v84
	v_fmac_f16_e32 v84, 0xbaee, v13
	v_mul_f16_e64 v16, v89, v229
	s_delay_alu instid0(VALU_DEP_4) | instskip(SKIP_1) | instid1(VALU_DEP_3)
	v_fmamk_f16 v13, v12, 0xbaee, v17
	v_fmac_f16_e32 v17, 0x3aee, v12
	v_fmac_f16_e32 v16, v15, v73
	s_delay_alu instid0(VALU_DEP_3) | instskip(NEXT) | instid1(VALU_DEP_3)
	v_pack_b32_f16 v13, v14, v13
	v_pack_b32_f16 v12, v84, v17
	v_lshrrev_b32_e32 v17, 16, v130
	v_mul_f16_e64 v14, v15, v229
	v_add_f16_e32 v21, v19, v16
	s_delay_alu instid0(VALU_DEP_3) | instskip(SKIP_1) | instid1(VALU_DEP_4)
	v_mul_f16_e64 v15, v17, v228
	v_fmac_f16_e32 v18, v17, v74
	v_fma_f16 v14, v89, v73, -v14
	s_delay_alu instid0(VALU_DEP_3) | instskip(NEXT) | instid1(VALU_DEP_3)
	v_fma_f16 v15, v130, v74, -v15
	v_add_f16_e32 v20, v16, v18
	v_sub_f16_e32 v16, v16, v18
	s_delay_alu instid0(VALU_DEP_3) | instskip(NEXT) | instid1(VALU_DEP_3)
	v_add_f16_e32 v17, v14, v15
	v_fmac_f16_e32 v19, -0.5, v20
	v_sub_f16_e32 v20, v14, v15
	v_add_f16_e32 v14, v85, v14
	s_delay_alu instid0(VALU_DEP_4) | instskip(NEXT) | instid1(VALU_DEP_3)
	v_fma_f16 v17, -0.5, v17, v85
	v_fmamk_f16 v23, v20, 0xbaee, v19
	v_fmac_f16_e32 v19, 0x3aee, v20
	s_delay_alu instid0(VALU_DEP_4) | instskip(NEXT) | instid1(VALU_DEP_4)
	v_add_f16_e32 v14, v14, v15
	v_fmamk_f16 v22, v16, 0x3aee, v17
	v_fmac_f16_e32 v17, 0xbaee, v16
	v_mul_f16_e64 v16, v90, v231
	v_add_f16_e32 v15, v21, v18
	v_mul_f16_e64 v20, v131, v230
	v_pack_b32_f16 v22, v22, v23
	v_lshlrev_b32_e32 v18, 3, v216
	ds_store_2addr_b32 v32, v13, v22 offset0:94 offset1:184
	v_pack_b32_f16 v13, v17, v19
	v_lshrrev_b32_e32 v17, 16, v131
	v_add_nc_u32_e32 v32, 0x1600, v190
	ds_store_2addr_b32 v163, v12, v13 offset0:98 offset1:188
	v_lshrrev_b32_e32 v12, 16, v90
	v_mul_f16_e64 v19, v17, v230
	v_fmac_f16_e32 v20, v17, v72
	s_delay_alu instid0(VALU_DEP_3)
	v_mul_f16_e64 v13, v12, v231
	v_fmac_f16_e32 v16, v12, v71
	v_pack_b32_f16 v12, v14, v15
	v_lshrrev_b32_e32 v15, 16, v86
	v_fma_f16 v19, v131, v72, -v19
	v_fma_f16 v13, v90, v71, -v13
	s_delay_alu instid0(VALU_DEP_3) | instskip(NEXT) | instid1(VALU_DEP_2)
	v_add_f16_e32 v17, v15, v16
	v_add_f16_e32 v14, v86, v13
	s_delay_alu instid0(VALU_DEP_2) | instskip(NEXT) | instid1(VALU_DEP_2)
	v_add_f16_e32 v17, v17, v20
	v_add_f16_e32 v14, v14, v19
	s_delay_alu instid0(VALU_DEP_1) | instskip(SKIP_4) | instid1(VALU_DEP_2)
	v_pack_b32_f16 v14, v14, v17
	v_lshlrev_b32_e32 v17, 3, v233
	ds_store_2addr_b32 v255, v12, v14 offset0:52 offset1:142
	v_add_f16_e32 v12, v13, v19
	v_sub_f16_e32 v14, v16, v20
	v_fmac_f16_e32 v86, -0.5, v12
	v_add_f16_e32 v12, v16, v20
	v_add_nc_u32_e32 v16, 0x1c2, v159
	s_delay_alu instid0(VALU_DEP_2)
	v_fmac_f16_e32 v15, -0.5, v12
	v_sub_f16_e32 v12, v13, v19
	v_fmamk_f16 v13, v14, 0x3aee, v86
	v_fmac_f16_e32 v86, 0xbaee, v14
	v_lshlrev_b32_e32 v16, 3, v16
	s_waitcnt lgkmcnt(12)
	v_lshrrev_b32_e32 v19, 16, v139
	v_fmamk_f16 v14, v12, 0xbaee, v15
	v_fmac_f16_e32 v15, 0x3aee, v12
	s_delay_alu instid0(VALU_DEP_2) | instskip(NEXT) | instid1(VALU_DEP_2)
	v_pack_b32_f16 v13, v13, v14
	v_pack_b32_f16 v12, v86, v15
	v_lshlrev_b32_e32 v15, 3, v234
	s_clause 0x3
	global_load_b64 v[85:86], v15, s[6:7] offset:3588
	global_load_b64 v[83:84], v16, s[6:7] offset:3588
	;; [unrolled: 1-line block ×4, first 2 shown]
	s_waitcnt lgkmcnt(11)
	v_lshrrev_b32_e32 v15, 16, v141
	s_waitcnt lgkmcnt(10)
	v_lshrrev_b32_e32 v17, 16, v248
	s_waitcnt vmcnt(3)
	v_lshrrev_b32_e32 v244, 16, v85
	v_lshrrev_b32_e32 v243, 16, v86
	s_waitcnt vmcnt(2)
	v_lshrrev_b32_e32 v246, 16, v84
	s_waitcnt vmcnt(1)
	;; [unrolled: 2-line block ×3, first 2 shown]
	v_lshrrev_b32_e32 v253, 16, v216
	v_mul_f16_e64 v16, v141, v244
	v_mul_f16_e64 v18, v248, v243
	;; [unrolled: 1-line block ×3, first 2 shown]
	v_lshrrev_b32_e32 v252, 16, v217
	s_delay_alu instid0(VALU_DEP_4) | instskip(SKIP_3) | instid1(VALU_DEP_4)
	v_fmac_f16_e32 v16, v15, v85
	v_mul_f16_e64 v15, v17, v243
	v_fmac_f16_e32 v18, v17, v86
	v_fma_f16 v14, v141, v85, -v14
	v_add_f16_e32 v21, v19, v16
	s_delay_alu instid0(VALU_DEP_4) | instskip(NEXT) | instid1(VALU_DEP_4)
	v_fma_f16 v15, v248, v86, -v15
	v_add_f16_e32 v20, v16, v18
	v_sub_f16_e32 v16, v16, v18
	v_lshrrev_b32_e32 v248, 16, v83
	s_delay_alu instid0(VALU_DEP_4) | instskip(NEXT) | instid1(VALU_DEP_4)
	v_add_f16_e32 v17, v14, v15
	v_fmac_f16_e32 v19, -0.5, v20
	v_sub_f16_e32 v20, v14, v15
	v_add_f16_e64 v14, v139, v14
	s_delay_alu instid0(VALU_DEP_4) | instskip(NEXT) | instid1(VALU_DEP_3)
	v_fma_f16 v17, -0.5, v17, v139
	v_fmamk_f16 v23, v20, 0xbaee, v19
	v_fmac_f16_e32 v19, 0x3aee, v20
	s_delay_alu instid0(VALU_DEP_4) | instskip(NEXT) | instid1(VALU_DEP_4)
	v_add_f16_e32 v14, v14, v15
	v_fmamk_f16 v22, v16, 0x3aee, v17
	v_fmac_f16_e32 v17, 0xbaee, v16
	v_mul_f16_e64 v16, v142, v248
	v_add_f16_e32 v15, v21, v18
	v_mul_f16_e64 v20, v249, v246
	v_pack_b32_f16 v22, v22, v23
	ds_store_2addr_b32 v128, v13, v22 offset0:146 offset1:236
	v_pack_b32_f16 v13, v17, v19
	v_lshrrev_b32_e32 v17, 16, v249
	ds_store_2addr_b32 v251, v12, v13 offset0:22 offset1:112
	v_lshrrev_b32_e32 v12, 16, v142
	v_mul_f16_e64 v19, v17, v246
	v_fmac_f16_e32 v20, v17, v84
	s_delay_alu instid0(VALU_DEP_3)
	v_mul_f16_e64 v13, v12, v248
	v_fmac_f16_e32 v16, v12, v83
	v_pack_b32_f16 v12, v14, v15
	v_lshrrev_b32_e32 v15, 16, v140
	v_fma_f16 v19, v249, v84, -v19
	v_fma_f16 v13, v142, v83, -v13
	v_lshrrev_b32_e32 v249, 16, v234
	s_delay_alu instid0(VALU_DEP_4) | instskip(NEXT) | instid1(VALU_DEP_3)
	v_add_f16_e32 v17, v15, v16
	v_add_f16_e64 v14, v140, v13
	s_waitcnt lgkmcnt(9)
	s_delay_alu instid0(VALU_DEP_3) | instskip(NEXT) | instid1(VALU_DEP_3)
	v_mul_f16_e64 v18, v6, v249
	v_add_f16_e32 v17, v17, v20
	s_delay_alu instid0(VALU_DEP_3) | instskip(NEXT) | instid1(VALU_DEP_1)
	v_add_f16_e32 v14, v14, v19
	v_pack_b32_f16 v14, v14, v17
	v_lshrrev_b32_e32 v17, 16, v6
	ds_store_2addr_b32 v135, v12, v14 offset0:104 offset1:194
	v_add_f16_e32 v12, v13, v19
	v_sub_f16_e32 v14, v16, v20
	v_fmac_f16_e64 v18, v17, v234
	s_delay_alu instid0(VALU_DEP_3) | instskip(SKIP_2) | instid1(VALU_DEP_2)
	v_fmac_f16_e64 v140, -0.5, v12
	v_add_f16_e32 v12, v16, v20
	v_mul_f16_e64 v16, v4, v250
	v_fmac_f16_e32 v15, -0.5, v12
	v_sub_f16_e32 v12, v13, v19
	v_fma_f16 v13, 0x3aee, v14, v140
	v_fmac_f16_e64 v140, 0xbaee, v14
	v_lshrrev_b32_e32 v19, 16, v0
	s_delay_alu instid0(VALU_DEP_4) | instskip(SKIP_1) | instid1(VALU_DEP_2)
	v_fmamk_f16 v14, v12, 0xbaee, v15
	v_fmac_f16_e32 v15, 0x3aee, v12
	v_pack_b32_f16 v13, v13, v14
	s_delay_alu instid0(VALU_DEP_2) | instskip(SKIP_1) | instid1(VALU_DEP_1)
	v_pack_b32_f16 v12, v140, v15
	v_lshrrev_b32_e32 v15, 16, v4
	v_fmac_f16_e64 v16, v15, v233
	v_mul_f16_e64 v14, v15, v250
	v_mul_f16_e64 v15, v17, v249
	s_delay_alu instid0(VALU_DEP_3) | instskip(NEXT) | instid1(VALU_DEP_3)
	v_add_f16_e32 v20, v16, v18
	v_fma_f16 v4, v4, v233, -v14
	s_delay_alu instid0(VALU_DEP_3) | instskip(SKIP_3) | instid1(VALU_DEP_4)
	v_fma_f16 v6, v6, v234, -v15
	v_add_f16_e32 v21, v19, v16
	v_sub_f16_e32 v15, v16, v18
	v_fmac_f16_e32 v19, -0.5, v20
	v_add_f16_e32 v14, v4, v6
	v_sub_f16_e32 v16, v4, v6
	s_delay_alu instid0(VALU_DEP_2) | instskip(NEXT) | instid1(VALU_DEP_2)
	v_fma_f16 v14, -0.5, v14, v0
	v_fmamk_f16 v20, v16, 0xbaee, v19
	v_fmac_f16_e32 v19, 0x3aee, v16
	v_add_f16_e32 v0, v0, v4
	v_add_f16_e32 v4, v21, v18
	v_fmamk_f16 v17, v15, 0x3aee, v14
	v_fmac_f16_e32 v14, 0xbaee, v15
	s_delay_alu instid0(VALU_DEP_4) | instskip(SKIP_1) | instid1(VALU_DEP_4)
	v_add_f16_e32 v0, v0, v6
	v_lshrrev_b32_e32 v6, 16, v1
	v_pack_b32_f16 v17, v17, v20
	s_delay_alu instid0(VALU_DEP_3)
	v_pack_b32_f16 v0, v0, v4
	ds_store_2addr_b32 v241, v13, v17 offset0:70 offset1:160
	v_pack_b32_f16 v13, v14, v19
	v_lshrrev_b32_e32 v14, 16, v7
	ds_store_2addr_b32 v31, v12, v13 offset0:74 offset1:164
	v_lshrrev_b32_e32 v12, 16, v5
	v_mul_f16_e64 v15, v14, v252
	s_delay_alu instid0(VALU_DEP_2) | instskip(NEXT) | instid1(VALU_DEP_2)
	v_mul_f16_e64 v13, v12, v253
	v_fma_f16 v15, v7, v217, -v15
	v_mul_f16_e64 v7, v7, v252
	s_delay_alu instid0(VALU_DEP_3) | instskip(SKIP_1) | instid1(VALU_DEP_3)
	v_fma_f16 v13, v5, v216, -v13
	v_mul_f16_e64 v5, v5, v253
	v_fmac_f16_e64 v7, v14, v217
	s_delay_alu instid0(VALU_DEP_3) | instskip(NEXT) | instid1(VALU_DEP_3)
	v_add_f16_e32 v4, v1, v13
	v_fmac_f16_e64 v5, v12, v216
	s_delay_alu instid0(VALU_DEP_2) | instskip(NEXT) | instid1(VALU_DEP_2)
	v_add_f16_e32 v4, v4, v15
	v_add_f16_e32 v12, v6, v5
	s_delay_alu instid0(VALU_DEP_1) | instskip(NEXT) | instid1(VALU_DEP_1)
	v_add_f16_e32 v12, v12, v7
	v_pack_b32_f16 v4, v4, v12
	ds_store_2addr_b32 v242, v0, v4 offset0:28 offset1:118
	v_add_f16_e32 v0, v13, v15
	v_sub_f16_e32 v4, v5, v7
	s_delay_alu instid0(VALU_DEP_2) | instskip(SKIP_3) | instid1(VALU_DEP_3)
	v_fmac_f16_e32 v1, -0.5, v0
	v_add_f16_e32 v0, v5, v7
	s_waitcnt lgkmcnt(10)
	v_lshrrev_b32_e32 v7, 16, v10
	v_fmamk_f16 v5, v4, 0x3aee, v1
	s_delay_alu instid0(VALU_DEP_3) | instskip(SKIP_3) | instid1(VALU_DEP_3)
	v_fmac_f16_e32 v6, -0.5, v0
	v_sub_f16_e32 v0, v13, v15
	v_fmac_f16_e32 v1, 0xbaee, v4
	v_lshrrev_b32_e32 v13, 16, v2
	v_fmamk_f16 v4, v0, 0xbaee, v6
	v_fmac_f16_e32 v6, 0x3aee, v0
	s_delay_alu instid0(VALU_DEP_2) | instskip(NEXT) | instid1(VALU_DEP_2)
	v_pack_b32_f16 v4, v5, v4
	v_pack_b32_f16 v0, v1, v6
	v_lshlrev_b32_e32 v1, 3, v88
	v_lshlrev_b32_e32 v6, 3, v87
	s_clause 0x1
	global_load_b64 v[89:90], v1, s[6:7] offset:3588
	global_load_b64 v[87:88], v6, s[6:7] offset:3588
	v_lshrrev_b32_e32 v1, 16, v8
	s_mul_hi_u32 s7, s8, 0xe10
	s_waitcnt vmcnt(1)
	v_lshrrev_b32_e32 v130, 16, v89
	v_lshrrev_b32_e32 v116, 16, v90
	s_waitcnt vmcnt(0)
	v_lshrrev_b32_e32 v132, 16, v87
	v_lshrrev_b32_e32 v131, 16, v88
	v_mul_f16_e64 v6, v8, v130
	v_mul_f16_e32 v12, v10, v116
	v_mul_f16_e32 v5, v7, v116
	s_delay_alu instid0(VALU_DEP_3) | instskip(SKIP_1) | instid1(VALU_DEP_4)
	v_fmac_f16_e32 v6, v1, v89
	v_mul_f16_e64 v1, v1, v130
	v_fmac_f16_e32 v12, v7, v90
	s_delay_alu instid0(VALU_DEP_4) | instskip(NEXT) | instid1(VALU_DEP_4)
	v_fma_f16 v5, v10, v90, -v5
	v_add_f16_e32 v15, v13, v6
	s_delay_alu instid0(VALU_DEP_4) | instskip(NEXT) | instid1(VALU_DEP_4)
	v_fma_f16 v1, v8, v89, -v1
	v_add_f16_e32 v14, v6, v12
	v_sub_f16_e32 v6, v6, v12
	s_delay_alu instid0(VALU_DEP_3) | instskip(NEXT) | instid1(VALU_DEP_3)
	v_add_f16_e32 v7, v1, v5
	v_fmac_f16_e32 v13, -0.5, v14
	v_sub_f16_e32 v8, v1, v5
	v_add_f16_e32 v1, v2, v1
	s_delay_alu instid0(VALU_DEP_4) | instskip(SKIP_1) | instid1(VALU_DEP_4)
	v_fma_f16 v7, -0.5, v7, v2
	v_add_f16_e32 v2, v15, v12
	v_fmamk_f16 v14, v8, 0xbaee, v13
	v_fmac_f16_e32 v13, 0x3aee, v8
	v_add_f16_e32 v1, v1, v5
	v_fmamk_f16 v10, v6, 0x3aee, v7
	v_fmac_f16_e32 v7, 0xbaee, v6
	v_mul_f16_e64 v6, v9, v132
	s_delay_alu instid0(VALU_DEP_3)
	v_pack_b32_f16 v10, v10, v14
	ds_store_2addr_b32 v32, v4, v10 offset0:122 offset1:212
	v_pack_b32_f16 v4, v7, v13
	v_lshrrev_b32_e32 v7, 16, v11
	ds_store_2addr_b32 v178, v0, v4 offset0:126 offset1:216
	v_lshrrev_b32_e32 v0, 16, v9
	v_mul_f16_e64 v8, v7, v131
	s_delay_alu instid0(VALU_DEP_2)
	v_mul_f16_e64 v4, v0, v132
	v_fmac_f16_e32 v6, v0, v87
	v_pack_b32_f16 v0, v1, v2
	v_lshrrev_b32_e32 v2, 16, v3
	v_fma_f16 v8, v11, v88, -v8
	v_fma_f16 v4, v9, v87, -v4
	v_mul_f16_e64 v9, v11, v131
	s_delay_alu instid0(VALU_DEP_4) | instskip(NEXT) | instid1(VALU_DEP_3)
	v_add_f16_e32 v5, v2, v6
	v_add_f16_e32 v1, v3, v4
	s_delay_alu instid0(VALU_DEP_3) | instskip(NEXT) | instid1(VALU_DEP_2)
	v_fmac_f16_e32 v9, v7, v88
	v_add_f16_e32 v1, v1, v8
	s_delay_alu instid0(VALU_DEP_2) | instskip(NEXT) | instid1(VALU_DEP_1)
	v_add_f16_e32 v5, v5, v9
	v_pack_b32_f16 v1, v1, v5
	ds_store_2addr_b32 v162, v0, v1 offset0:80 offset1:170
	v_add_f16_e32 v0, v4, v8
	v_sub_f16_e32 v1, v6, v9
	s_delay_alu instid0(VALU_DEP_2) | instskip(SKIP_1) | instid1(VALU_DEP_1)
	v_fmac_f16_e32 v3, -0.5, v0
	v_add_f16_e32 v0, v6, v9
	v_fmac_f16_e32 v2, -0.5, v0
	v_sub_f16_e32 v0, v4, v8
	s_delay_alu instid0(VALU_DEP_4) | instskip(SKIP_1) | instid1(VALU_DEP_3)
	v_fmamk_f16 v4, v1, 0x3aee, v3
	v_fmac_f16_e32 v3, 0xbaee, v1
	v_fmamk_f16 v1, v0, 0xbaee, v2
	v_fmac_f16_e32 v2, 0x3aee, v0
	s_delay_alu instid0(VALU_DEP_2) | instskip(NEXT) | instid1(VALU_DEP_2)
	v_pack_b32_f16 v1, v4, v1
	v_pack_b32_f16 v0, v3, v2
	ds_store_b32 v190, v1 offset:6840
	ds_store_b32 v190, v0 offset:10440
	s_waitcnt lgkmcnt(0)
	s_barrier
	buffer_gl0_inv
	s_clause 0x6
	global_load_b32 v139, v[91:92], off offset:2608
	global_load_b32 v11, v[49:50], off offset:360
	;; [unrolled: 1-line block ×7, first 2 shown]
	ds_load_2addr_b32 v[0:1], v190 offset1:90
	s_waitcnt lgkmcnt(0)
	v_lshrrev_b32_e32 v3, 16, v0
	s_waitcnt vmcnt(6)
	v_lshrrev_b32_e32 v2, 16, v139
	s_delay_alu instid0(VALU_DEP_1) | instskip(NEXT) | instid1(VALU_DEP_3)
	v_mul_f16_e32 v4, v0, v2
	v_mul_f16_e32 v2, v3, v2
	s_delay_alu instid0(VALU_DEP_2) | instskip(NEXT) | instid1(VALU_DEP_2)
	v_fmac_f16_e64 v4, v3, v139
	v_fma_f16 v0, v0, v139, -v2
	s_delay_alu instid0(VALU_DEP_1)
	v_pack_b32_f16 v0, v0, v4
	ds_store_b32 v190, v0
	global_load_b32 v0, v[49:50], off offset:1800
	ds_load_2addr_b32 v[2:3], v135 offset0:104 offset1:194
	s_waitcnt lgkmcnt(0)
	v_lshrrev_b32_e32 v6, 16, v3
	s_waitcnt vmcnt(0)
	v_lshrrev_b32_e32 v4, 16, v0
	s_delay_alu instid0(VALU_DEP_1) | instskip(NEXT) | instid1(VALU_DEP_3)
	v_mul_f16_e32 v7, v3, v4
	v_mul_f16_e32 v4, v6, v4
	s_delay_alu instid0(VALU_DEP_2) | instskip(NEXT) | instid1(VALU_DEP_2)
	v_fmac_f16_e32 v7, v6, v0
	v_fma_f16 v0, v3, v0, -v4
	ds_load_2addr_b32 v[3:4], v242 offset0:28 offset1:118
	v_lshrrev_b32_e32 v6, 16, v5
	v_pack_b32_f16 v0, v0, v7
	s_waitcnt lgkmcnt(0)
	v_lshrrev_b32_e32 v8, 16, v3
	s_delay_alu instid0(VALU_DEP_3) | instskip(NEXT) | instid1(VALU_DEP_2)
	v_mul_f16_e32 v9, v3, v6
	v_mul_f16_e32 v6, v8, v6
	s_delay_alu instid0(VALU_DEP_2) | instskip(NEXT) | instid1(VALU_DEP_2)
	v_fmac_f16_e32 v9, v8, v5
	v_fma_f16 v3, v3, v5, -v6
	v_add_nc_u32_e32 v5, 0x600, v190
	s_delay_alu instid0(VALU_DEP_2)
	v_pack_b32_f16 v3, v3, v9
	ds_store_2addr_b32 v5, v0, v3 offset0:66 offset1:156
	v_add_co_u32 v5, vcc_lo, 0x4000, v170
	v_add_co_ci_u32_e32 v6, vcc_lo, 0, v171, vcc_lo
	s_clause 0x6
	global_load_b32 v0, v[5:6], off offset:1616
	global_load_b32 v3, v[5:6], off offset:1976
	;; [unrolled: 1-line block ×7, first 2 shown]
	ds_load_2addr_b32 v[7:8], v163 offset0:8 offset1:98
	s_waitcnt lgkmcnt(0)
	v_lshrrev_b32_e32 v10, 16, v7
	s_waitcnt vmcnt(6)
	v_lshrrev_b32_e32 v9, 16, v0
	s_delay_alu instid0(VALU_DEP_1) | instskip(NEXT) | instid1(VALU_DEP_3)
	v_mul_f16_e32 v21, v7, v9
	v_mul_f16_e32 v9, v10, v9
	s_delay_alu instid0(VALU_DEP_2) | instskip(NEXT) | instid1(VALU_DEP_2)
	v_fmac_f16_e32 v21, v10, v0
	v_fma_f16 v0, v7, v0, -v9
	s_clause 0x1
	global_load_b32 v7, v[5:6], off offset:1256
	global_load_b32 v22, v[5:6], off offset:896
	ds_load_2addr_b32 v[9:10], v34 offset0:84 offset1:174
	v_pack_b32_f16 v0, v0, v21
	s_waitcnt lgkmcnt(0)
	v_lshrrev_b32_e32 v24, 16, v10
	s_waitcnt vmcnt(1)
	v_lshrrev_b32_e32 v23, 16, v7
	s_delay_alu instid0(VALU_DEP_1) | instskip(NEXT) | instid1(VALU_DEP_3)
	v_mul_f16_e32 v25, v10, v23
	v_mul_f16_e32 v23, v24, v23
	s_delay_alu instid0(VALU_DEP_2) | instskip(NEXT) | instid1(VALU_DEP_2)
	v_fmac_f16_e32 v25, v24, v7
	v_fma_f16 v7, v10, v7, -v23
	v_add_nc_u32_e32 v10, 0x1a00, v190
	s_delay_alu instid0(VALU_DEP_2)
	v_pack_b32_f16 v7, v7, v25
	ds_store_2addr_b32 v10, v7, v0 offset0:46 offset1:136
	s_clause 0x4
	global_load_b32 v21, v[5:6], off offset:176
	global_load_b32 v23, v[5:6], off offset:536
	;; [unrolled: 1-line block ×5, first 2 shown]
	v_lshrrev_b32_e32 v0, 16, v1
	v_lshrrev_b32_e32 v7, 16, v11
	s_delay_alu instid0(VALU_DEP_1) | instskip(SKIP_1) | instid1(VALU_DEP_2)
	v_mul_f16_e32 v10, v0, v7
	v_mul_f16_e32 v7, v1, v7
	v_fma_f16 v10, v1, v11, -v10
	s_delay_alu instid0(VALU_DEP_2)
	v_fmac_f16_e32 v7, v0, v11
	ds_load_2addr_b32 v[0:1], v35 offset0:132 offset1:222
	s_waitcnt lgkmcnt(0)
	v_lshrrev_b32_e32 v25, 16, v0
	s_waitcnt vmcnt(2)
	v_lshrrev_b32_e32 v11, 16, v5
	s_delay_alu instid0(VALU_DEP_1) | instskip(NEXT) | instid1(VALU_DEP_3)
	v_mul_f16_e32 v26, v0, v11
	v_mul_f16_e32 v11, v25, v11
	s_delay_alu instid0(VALU_DEP_2) | instskip(NEXT) | instid1(VALU_DEP_2)
	v_fmac_f16_e32 v26, v25, v5
	v_fma_f16 v25, v0, v5, -v11
	v_lshrrev_b32_e32 v0, 16, v1
	s_waitcnt vmcnt(1)
	v_lshrrev_b32_e32 v5, 16, v6
	s_delay_alu instid0(VALU_DEP_1) | instskip(SKIP_1) | instid1(VALU_DEP_2)
	v_mul_f16_e32 v11, v0, v5
	v_mul_f16_e32 v27, v1, v5
	v_fma_f16 v11, v1, v6, -v11
	v_lshrrev_b32_e32 v1, 16, v3
	s_delay_alu instid0(VALU_DEP_3) | instskip(SKIP_1) | instid1(VALU_DEP_3)
	v_fmac_f16_e32 v27, v0, v6
	v_lshrrev_b32_e32 v0, 16, v8
	v_mul_f16_e32 v28, v8, v1
	s_delay_alu instid0(VALU_DEP_2) | instskip(NEXT) | instid1(VALU_DEP_2)
	v_mul_f16_e32 v5, v0, v1
	v_fmac_f16_e32 v28, v0, v3
	ds_load_2addr_b32 v[0:1], v255 offset0:52 offset1:142
	v_fma_f16 v29, v8, v3, -v5
	v_lshrrev_b32_e32 v3, 16, v12
	s_waitcnt lgkmcnt(0)
	v_lshrrev_b32_e32 v5, 16, v0
	s_delay_alu instid0(VALU_DEP_2) | instskip(NEXT) | instid1(VALU_DEP_2)
	v_mul_f16_e32 v6, v0, v3
	v_mul_f16_e32 v3, v5, v3
	s_delay_alu instid0(VALU_DEP_2) | instskip(SKIP_1) | instid1(VALU_DEP_3)
	v_fmac_f16_e32 v6, v5, v12
	v_add_co_u32 v5, vcc_lo, 0x3000, v170
	v_fma_f16 v0, v0, v12, -v3
	v_pack_b32_f16 v3, v10, v7
	ds_load_2addr_b32 v[7:8], v128 offset0:56 offset1:146
	v_pack_b32_f16 v0, v0, v6
	v_add_co_ci_u32_e32 v6, vcc_lo, 0, v171, vcc_lo
	ds_store_2addr_b32 v190, v3, v0 offset0:90 offset1:180
	global_load_b32 v0, v[5:6], off offset:2832
	s_waitcnt lgkmcnt(1)
	v_lshrrev_b32_e32 v10, 16, v7
	s_waitcnt vmcnt(0)
	v_lshrrev_b32_e32 v3, 16, v0
	s_delay_alu instid0(VALU_DEP_1) | instskip(NEXT) | instid1(VALU_DEP_3)
	v_mul_f16_e32 v12, v7, v3
	v_mul_f16_e32 v3, v10, v3
	s_delay_alu instid0(VALU_DEP_2) | instskip(NEXT) | instid1(VALU_DEP_2)
	v_fmac_f16_e32 v12, v10, v0
	v_fma_f16 v0, v7, v0, -v3
	v_pack_b32_f16 v3, v11, v27
	ds_load_2addr_b32 v[10:11], v97 offset0:60 offset1:150
	v_pack_b32_f16 v0, v0, v12
	ds_store_2addr_b32 v30, v3, v0 offset0:94 offset1:184
	v_lshrrev_b32_e32 v0, 16, v16
	s_waitcnt lgkmcnt(1)
	v_lshrrev_b32_e32 v3, 16, v10
	s_delay_alu instid0(VALU_DEP_2) | instskip(NEXT) | instid1(VALU_DEP_2)
	v_mul_f16_e32 v7, v10, v0
	v_mul_f16_e32 v0, v3, v0
	s_delay_alu instid0(VALU_DEP_2) | instskip(SKIP_1) | instid1(VALU_DEP_3)
	v_fmac_f16_e32 v7, v3, v16
	v_pack_b32_f16 v3, v29, v28
	v_fma_f16 v0, v10, v16, -v0
	s_delay_alu instid0(VALU_DEP_1)
	v_pack_b32_f16 v0, v0, v7
	ds_store_2addr_b32 v163, v3, v0 offset0:98 offset1:188
	s_clause 0x2
	global_load_b32 v10, v[5:6], off offset:3192
	global_load_b32 v12, v[5:6], off offset:3552
	;; [unrolled: 1-line block ×3, first 2 shown]
	v_lshrrev_b32_e32 v0, 16, v1
	v_lshrrev_b32_e32 v3, 16, v13
	s_delay_alu instid0(VALU_DEP_1) | instskip(SKIP_1) | instid1(VALU_DEP_2)
	v_mul_f16_e32 v7, v0, v3
	v_mul_f16_e32 v3, v1, v3
	v_fma_f16 v7, v1, v13, -v7
	s_delay_alu instid0(VALU_DEP_2)
	v_fmac_f16_e32 v3, v0, v13
	v_add_co_u32 v0, vcc_lo, 0x5000, v170
	v_add_co_ci_u32_e32 v1, vcc_lo, 0, v171, vcc_lo
	s_clause 0x2
	global_load_b32 v6, v[0:1], off offset:40
	global_load_b32 v13, v[0:1], off offset:400
	;; [unrolled: 1-line block ×3, first 2 shown]
	v_lshrrev_b32_e32 v0, 16, v8
	s_waitcnt vmcnt(5)
	v_lshrrev_b32_e32 v1, 16, v10
	s_delay_alu instid0(VALU_DEP_1) | instskip(NEXT) | instid1(VALU_DEP_3)
	v_mul_f16_e32 v28, v8, v1
	v_mul_f16_e32 v27, v0, v1
	v_lshrrev_b32_e32 v1, 16, v15
	s_delay_alu instid0(VALU_DEP_3) | instskip(SKIP_1) | instid1(VALU_DEP_4)
	v_fmac_f16_e32 v28, v0, v10
	v_lshrrev_b32_e32 v0, 16, v2
	v_fma_f16 v8, v8, v10, -v27
	s_delay_alu instid0(VALU_DEP_2) | instskip(SKIP_1) | instid1(VALU_DEP_2)
	v_mul_f16_e32 v10, v0, v1
	v_mul_f16_e32 v1, v2, v1
	v_fma_f16 v2, v2, v15, -v10
	s_delay_alu instid0(VALU_DEP_2) | instskip(SKIP_2) | instid1(VALU_DEP_3)
	v_fmac_f16_e32 v1, v0, v15
	v_lshrrev_b32_e32 v0, 16, v11
	v_lshrrev_b32_e32 v10, 16, v17
	v_pack_b32_f16 v1, v2, v1
	s_waitcnt vmcnt(4)
	v_lshrrev_b32_e32 v2, 16, v12
	s_delay_alu instid0(VALU_DEP_3) | instskip(SKIP_1) | instid1(VALU_DEP_2)
	v_mul_f16_e32 v15, v0, v10
	v_mul_f16_e32 v10, v11, v10
	v_fma_f16 v11, v11, v17, -v15
	s_delay_alu instid0(VALU_DEP_2)
	v_fmac_f16_e32 v10, v0, v17
	v_pack_b32_f16 v0, v7, v3
	ds_store_2addr_b32 v135, v0, v1 offset0:14 offset1:104
	ds_load_2addr_b32 v[0:1], v98 offset0:108 offset1:198
	s_waitcnt lgkmcnt(0)
	v_lshrrev_b32_e32 v3, 16, v0
	v_mul_f16_e32 v7, v0, v2
	s_delay_alu instid0(VALU_DEP_2) | instskip(NEXT) | instid1(VALU_DEP_2)
	v_mul_f16_e32 v2, v3, v2
	v_fmac_f16_e32 v7, v3, v12
	s_delay_alu instid0(VALU_DEP_2) | instskip(SKIP_1) | instid1(VALU_DEP_2)
	v_fma_f16 v0, v0, v12, -v2
	v_pack_b32_f16 v2, v8, v28
	v_pack_b32_f16 v0, v0, v7
	ds_store_2addr_b32 v128, v2, v0 offset0:146 offset1:236
	ds_load_2addr_b32 v[2:3], v251 offset0:112 offset1:202
	v_lshrrev_b32_e32 v0, 16, v18
	s_waitcnt lgkmcnt(0)
	v_lshrrev_b32_e32 v7, 16, v2
	s_delay_alu instid0(VALU_DEP_2) | instskip(NEXT) | instid1(VALU_DEP_2)
	v_mul_f16_e32 v8, v2, v0
	v_mul_f16_e32 v0, v7, v0
	s_delay_alu instid0(VALU_DEP_2) | instskip(NEXT) | instid1(VALU_DEP_2)
	v_fmac_f16_e32 v8, v7, v18
	v_fma_f16 v0, v2, v18, -v0
	v_pack_b32_f16 v2, v11, v10
	s_delay_alu instid0(VALU_DEP_2) | instskip(SKIP_4) | instid1(VALU_DEP_1)
	v_pack_b32_f16 v0, v0, v8
	ds_store_2addr_b32 v251, v2, v0 offset0:22 offset1:112
	v_lshrrev_b32_e32 v0, 16, v1
	s_waitcnt vmcnt(3)
	v_lshrrev_b32_e32 v2, 16, v5
	v_mul_f16_e32 v7, v0, v2
	v_mul_f16_e32 v2, v1, v2
	s_delay_alu instid0(VALU_DEP_2) | instskip(SKIP_1) | instid1(VALU_DEP_3)
	v_fma_f16 v7, v1, v5, -v7
	v_lshrrev_b32_e32 v1, 16, v19
	v_fmac_f16_e32 v2, v0, v5
	v_lshrrev_b32_e32 v0, 16, v3
	s_delay_alu instid0(VALU_DEP_3) | instskip(NEXT) | instid1(VALU_DEP_3)
	v_mul_f16_e32 v8, v3, v1
	v_pack_b32_f16 v2, v7, v2
	s_delay_alu instid0(VALU_DEP_3) | instskip(NEXT) | instid1(VALU_DEP_3)
	v_mul_f16_e32 v5, v0, v1
	v_fmac_f16_e32 v8, v0, v19
	ds_load_2addr_b32 v[0:1], v241 offset0:160 offset1:250
	v_fma_f16 v5, v3, v19, -v5
	v_lshrrev_b32_e32 v3, 16, v21
	s_waitcnt lgkmcnt(0)
	v_lshrrev_b32_e32 v10, 16, v0
	s_delay_alu instid0(VALU_DEP_2) | instskip(NEXT) | instid1(VALU_DEP_2)
	v_mul_f16_e32 v11, v0, v3
	v_mul_f16_e32 v3, v10, v3
	s_delay_alu instid0(VALU_DEP_2) | instskip(NEXT) | instid1(VALU_DEP_2)
	v_fmac_f16_e32 v11, v10, v21
	v_fma_f16 v0, v0, v21, -v3
	v_mov_b32_e32 v21, v241
	s_delay_alu instid0(VALU_DEP_2) | instskip(NEXT) | instid1(VALU_DEP_2)
	v_pack_b32_f16 v0, v0, v11
	v_mov_b32_e32 v34, v21
	ds_store_2addr_b32 v241, v2, v0 offset0:70 offset1:160
	ds_load_2addr_b32 v[2:3], v178 offset0:36 offset1:126
	v_lshrrev_b32_e32 v0, 16, v20
	v_mov_b32_e32 v241, v97
	s_waitcnt lgkmcnt(0)
	v_lshrrev_b32_e32 v7, 16, v2
	s_delay_alu instid0(VALU_DEP_3) | instskip(NEXT) | instid1(VALU_DEP_2)
	v_mul_f16_e32 v10, v2, v0
	v_mul_f16_e32 v0, v7, v0
	s_delay_alu instid0(VALU_DEP_2) | instskip(NEXT) | instid1(VALU_DEP_2)
	v_fmac_f16_e32 v10, v7, v20
	v_fma_f16 v0, v2, v20, -v0
	v_pack_b32_f16 v2, v5, v8
	s_delay_alu instid0(VALU_DEP_2) | instskip(SKIP_3) | instid1(VALU_DEP_1)
	v_pack_b32_f16 v0, v0, v10
	ds_store_2addr_b32 v31, v2, v0 offset0:74 offset1:164
	v_lshrrev_b32_e32 v0, 16, v4
	v_lshrrev_b32_e32 v2, 16, v14
	v_mul_f16_e32 v5, v0, v2
	v_mul_f16_e32 v2, v4, v2
	s_delay_alu instid0(VALU_DEP_2) | instskip(NEXT) | instid1(VALU_DEP_2)
	v_fma_f16 v4, v4, v14, -v5
	v_fmac_f16_e32 v2, v0, v14
	v_lshrrev_b32_e32 v0, 16, v1
	v_lshrrev_b32_e32 v5, 16, v23
	s_delay_alu instid0(VALU_DEP_3) | instskip(NEXT) | instid1(VALU_DEP_2)
	v_pack_b32_f16 v2, v4, v2
	v_mul_f16_e32 v7, v0, v5
	v_mul_f16_e32 v5, v1, v5
	s_delay_alu instid0(VALU_DEP_2) | instskip(SKIP_2) | instid1(VALU_DEP_3)
	v_fma_f16 v7, v1, v23, -v7
	s_waitcnt vmcnt(2)
	v_lshrrev_b32_e32 v1, 16, v6
	v_fmac_f16_e32 v5, v0, v23
	v_lshrrev_b32_e32 v0, 16, v3
	s_delay_alu instid0(VALU_DEP_3) | instskip(NEXT) | instid1(VALU_DEP_2)
	v_mul_f16_e32 v10, v3, v1
	v_mul_f16_e32 v8, v0, v1
	v_lshrrev_b32_e32 v1, 16, v22
	s_delay_alu instid0(VALU_DEP_3) | instskip(SKIP_1) | instid1(VALU_DEP_4)
	v_fmac_f16_e32 v10, v0, v6
	v_lshrrev_b32_e32 v0, 16, v9
	v_fma_f16 v8, v3, v6, -v8
	s_delay_alu instid0(VALU_DEP_4) | instskip(NEXT) | instid1(VALU_DEP_3)
	v_mul_f16_e32 v6, v9, v1
	v_mul_f16_e32 v3, v0, v1
	s_delay_alu instid0(VALU_DEP_2)
	v_fmac_f16_e32 v6, v0, v22
	ds_load_2addr_b32 v[0:1], v162 offset0:80 offset1:170
	v_fma_f16 v3, v9, v22, -v3
	global_load_b32 v9, v[49:50], off offset:2880
	s_waitcnt lgkmcnt(0)
	v_lshrrev_b32_e32 v12, 16, v0
	s_waitcnt vmcnt(0)
	v_lshrrev_b32_e32 v11, 16, v9
	s_delay_alu instid0(VALU_DEP_1) | instskip(NEXT) | instid1(VALU_DEP_3)
	v_mul_f16_e32 v14, v0, v11
	v_mul_f16_e32 v11, v12, v11
	s_delay_alu instid0(VALU_DEP_2) | instskip(NEXT) | instid1(VALU_DEP_2)
	v_fmac_f16_e32 v14, v12, v9
	v_fma_f16 v0, v0, v9, -v11
	s_delay_alu instid0(VALU_DEP_1)
	v_pack_b32_f16 v0, v0, v14
	ds_store_2addr_b32 v242, v2, v0 offset0:118 offset1:208
	v_pack_b32_f16 v0, v7, v5
	v_pack_b32_f16 v2, v3, v6
	ds_store_2addr_b32 v32, v0, v2 offset0:122 offset1:212
	ds_load_2addr_b32 v[2:3], v99 offset0:88 offset1:178
	v_lshrrev_b32_e32 v0, 16, v13
	s_waitcnt lgkmcnt(0)
	v_lshrrev_b32_e32 v4, 16, v2
	s_delay_alu instid0(VALU_DEP_2) | instskip(NEXT) | instid1(VALU_DEP_2)
	v_mul_f16_e32 v5, v2, v0
	v_mul_f16_e32 v0, v4, v0
	s_delay_alu instid0(VALU_DEP_2) | instskip(NEXT) | instid1(VALU_DEP_2)
	v_fmac_f16_e32 v5, v4, v13
	v_fma_f16 v0, v2, v13, -v0
	v_pack_b32_f16 v2, v8, v10
	s_delay_alu instid0(VALU_DEP_2) | instskip(SKIP_3) | instid1(VALU_DEP_1)
	v_pack_b32_f16 v0, v0, v5
	ds_store_2addr_b32 v178, v2, v0 offset0:126 offset1:216
	v_lshrrev_b32_e32 v0, 16, v1
	v_lshrrev_b32_e32 v2, 16, v24
	v_mul_f16_e32 v4, v0, v2
	v_mul_f16_e32 v2, v1, v2
	s_delay_alu instid0(VALU_DEP_2) | instskip(NEXT) | instid1(VALU_DEP_2)
	v_fma_f16 v1, v1, v24, -v4
	v_fmac_f16_e32 v2, v0, v24
	v_lshrrev_b32_e32 v0, 16, v3
	v_lshrrev_b32_e32 v4, 16, v16
	s_delay_alu instid0(VALU_DEP_3) | instskip(NEXT) | instid1(VALU_DEP_2)
	v_pack_b32_f16 v1, v1, v2
	v_mul_f16_e32 v5, v0, v4
	v_mul_f16_e32 v4, v3, v4
	s_delay_alu instid0(VALU_DEP_2) | instskip(NEXT) | instid1(VALU_DEP_2)
	v_fma_f16 v3, v3, v16, -v5
	v_fmac_f16_e32 v4, v0, v16
	v_pack_b32_f16 v0, v25, v26
	ds_store_2addr_b32 v35, v1, v0 offset0:42 offset1:132
	v_pack_b32_f16 v0, v3, v4
	ds_store_b32 v190, v0 offset:10440
	s_waitcnt lgkmcnt(0)
	s_barrier
	buffer_gl0_inv
	ds_load_2addr_b32 v[0:1], v255 offset0:52 offset1:142
	ds_load_2addr_b32 v[2:3], v128 offset0:56 offset1:146
	;; [unrolled: 1-line block ×3, first 2 shown]
	s_waitcnt lgkmcnt(1)
	v_pk_add_f16 v6, v0, v2
	s_waitcnt lgkmcnt(0)
	v_pk_add_f16 v7, v2, v4
	v_pk_add_f16 v8, v1, v3
	v_pk_add_f16 v9, v2, v4 neg_lo:[0,1] neg_hi:[0,1]
	v_pk_add_f16 v2, v3, v5
	v_pk_add_f16 v10, v3, v5 neg_lo:[0,1] neg_hi:[0,1]
	v_pk_add_f16 v11, v6, v4
	v_pk_add_f16 v8, v8, v5
	v_pk_fma_f16 v12, v7, 0.5, v0 op_sel_hi:[1,0,1] neg_lo:[1,0,0] neg_hi:[1,0,0]
	v_pk_fma_f16 v13, v2, 0.5, v1 op_sel_hi:[1,0,1] neg_lo:[1,0,0] neg_hi:[1,0,0]
	ds_load_2addr_b32 v[0:1], v135 offset0:104 offset1:194
	ds_load_2addr_b32 v[2:3], v98 offset0:108 offset1:198
	;; [unrolled: 1-line block ×3, first 2 shown]
	v_mov_b32_e32 v251, v35
	s_waitcnt lgkmcnt(1)
	v_pk_add_f16 v6, v0, v2
	s_waitcnt lgkmcnt(0)
	v_pk_add_f16 v7, v2, v4
	v_pk_add_f16 v14, v1, v3
	v_pk_add_f16 v15, v2, v4 neg_lo:[0,1] neg_hi:[0,1]
	v_pk_add_f16 v2, v3, v5
	v_pk_add_f16 v16, v3, v5 neg_lo:[0,1] neg_hi:[0,1]
	v_pk_add_f16 v17, v6, v4
	v_pk_add_f16 v14, v14, v5
	v_pk_fma_f16 v18, v7, 0.5, v0 op_sel_hi:[1,0,1] neg_lo:[1,0,0] neg_hi:[1,0,0]
	v_pk_fma_f16 v19, v2, 0.5, v1 op_sel_hi:[1,0,1] neg_lo:[1,0,0] neg_hi:[1,0,0]
	ds_load_2addr_b32 v[0:1], v242 offset0:28 offset1:118
	ds_load_2addr_b32 v[2:3], v21 offset0:160 offset1:250
	;; [unrolled: 1-line block ×3, first 2 shown]
	s_waitcnt lgkmcnt(1)
	v_pk_add_f16 v6, v0, v2
	s_waitcnt lgkmcnt(0)
	v_pk_add_f16 v7, v2, v4
	v_pk_add_f16 v21, v2, v4 neg_lo:[0,1] neg_hi:[0,1]
	v_pk_add_f16 v2, v3, v5
	v_pk_add_f16 v20, v1, v3
	v_pk_add_f16 v22, v3, v5 neg_lo:[0,1] neg_hi:[0,1]
	v_pk_fma_f16 v24, v7, 0.5, v0 op_sel_hi:[1,0,1] neg_lo:[1,0,0] neg_hi:[1,0,0]
	v_pk_add_f16 v23, v6, v4
	v_pk_fma_f16 v25, v2, 0.5, v1 op_sel_hi:[1,0,1] neg_lo:[1,0,0] neg_hi:[1,0,0]
	ds_load_2addr_b32 v[0:1], v162 offset0:80 offset1:170
	ds_load_2addr_b32 v[2:3], v176 offset0:84 offset1:174
	v_pk_add_f16 v20, v20, v5
	ds_load_2addr_b32 v[4:5], v99 offset0:88 offset1:178
	s_waitcnt lgkmcnt(1)
	v_pk_add_f16 v6, v0, v2
	v_pk_add_f16 v7, v1, v3
	s_waitcnt lgkmcnt(0)
	v_pk_add_f16 v26, v2, v4
	v_pk_add_f16 v27, v2, v4 neg_lo:[0,1] neg_hi:[0,1]
	v_pk_add_f16 v28, v3, v5
	v_pk_add_f16 v29, v3, v5 neg_lo:[0,1] neg_hi:[0,1]
	v_pk_add_f16 v30, v6, v4
	v_pk_add_f16 v31, v7, v5
	ds_load_2addr_b32 v[2:3], v190 offset1:90
	ds_load_2addr_b32 v[4:5], v35 offset0:132 offset1:222
	ds_load_2addr_b32 v[6:7], v163 offset0:8 offset1:98
	s_waitcnt lgkmcnt(0)
	s_barrier
	buffer_gl0_inv
	v_pk_fma_f16 v0, v26, 0.5, v0 op_sel_hi:[1,0,1] neg_lo:[1,0,0] neg_hi:[1,0,0]
	v_pk_add_f16 v48, v2, v4
	v_pk_add_f16 v49, v4, v6
	v_pk_add_f16 v4, v4, v6 neg_lo:[0,1] neg_hi:[0,1]
	v_pk_add_f16 v32, v3, v5
	v_pk_add_f16 v33, v5, v7
	v_pk_add_f16 v5, v5, v7 neg_lo:[0,1] neg_hi:[0,1]
	v_pk_fma_f16 v2, v49, 0.5, v2 op_sel_hi:[1,0,1] neg_lo:[1,0,0] neg_hi:[1,0,0]
	v_pk_mul_f16 v4, 0x3aee, v4 op_sel_hi:[0,1]
	v_pk_add_f16 v7, v32, v7
	v_pk_add_f16 v6, v48, v6
	v_pk_fma_f16 v3, v33, 0.5, v3 op_sel_hi:[1,0,1] neg_lo:[1,0,0] neg_hi:[1,0,0]
	s_delay_alu instid0(VALU_DEP_4) | instskip(SKIP_1) | instid1(VALU_DEP_1)
	v_pk_add_f16 v32, v2, v4 op_sel:[0,1] op_sel_hi:[1,0] neg_lo:[0,1] neg_hi:[0,1]
	v_pk_add_f16 v2, v2, v4 op_sel:[0,1] op_sel_hi:[1,0]
	v_bfi_b32 v4, 0xffff, v32, v2
	v_bfi_b32 v2, 0xffff, v2, v32
	scratch_load_b32 v32, off, off offset:248 ; 4-byte Folded Reload
	s_waitcnt vmcnt(0)
	ds_store_2addr_b32 v32, v6, v4 offset1:1
	ds_store_b32 v32, v2 offset:8
	v_pk_mul_f16 v2, 0x3aee, v5 op_sel_hi:[0,1]
	s_delay_alu instid0(VALU_DEP_1) | instskip(SKIP_1) | instid1(VALU_DEP_1)
	v_pk_add_f16 v4, v3, v2 op_sel:[0,1] op_sel_hi:[1,0] neg_lo:[0,1] neg_hi:[0,1]
	v_pk_add_f16 v2, v3, v2 op_sel:[0,1] op_sel_hi:[1,0]
	v_bfi_b32 v3, 0xffff, v4, v2
	v_bfi_b32 v2, 0xffff, v2, v4
	scratch_load_b32 v4, off, off offset:256 ; 4-byte Folded Reload
	s_waitcnt vmcnt(0)
	ds_store_2addr_b32 v4, v7, v3 offset1:1
	ds_store_b32 v4, v2 offset:8
	v_pk_mul_f16 v2, 0x3aee, v9 op_sel_hi:[0,1]
	s_delay_alu instid0(VALU_DEP_1) | instskip(SKIP_1) | instid1(VALU_DEP_1)
	;; [unrolled: 10-line block ×3, first 2 shown]
	v_pk_add_f16 v3, v13, v2 op_sel:[0,1] op_sel_hi:[1,0] neg_lo:[0,1] neg_hi:[0,1]
	v_pk_add_f16 v2, v13, v2 op_sel:[0,1] op_sel_hi:[1,0]
	v_bfi_b32 v4, 0xffff, v3, v2
	v_bfi_b32 v2, 0xffff, v2, v3
	ds_store_2addr_b32 v164, v8, v4 offset1:1
	ds_store_b32 v164, v2 offset:8
	v_pk_mul_f16 v2, 0x3aee, v15 op_sel_hi:[0,1]
	s_delay_alu instid0(VALU_DEP_1) | instskip(SKIP_1) | instid1(VALU_DEP_1)
	v_pk_add_f16 v3, v18, v2 op_sel:[0,1] op_sel_hi:[1,0] neg_lo:[0,1] neg_hi:[0,1]
	v_pk_add_f16 v2, v18, v2 op_sel:[0,1] op_sel_hi:[1,0]
	v_bfi_b32 v4, 0xffff, v3, v2
	v_bfi_b32 v2, 0xffff, v2, v3
	ds_store_2addr_b32 v160, v17, v4 offset1:1
	ds_store_b32 v160, v2 offset:8
	v_pk_mul_f16 v2, 0x3aee, v16 op_sel_hi:[0,1]
	s_delay_alu instid0(VALU_DEP_1) | instskip(SKIP_1) | instid1(VALU_DEP_1)
	;; [unrolled: 8-line block ×5, first 2 shown]
	v_pk_add_f16 v3, v0, v2 op_sel:[0,1] op_sel_hi:[1,0] neg_lo:[0,1] neg_hi:[0,1]
	v_pk_add_f16 v0, v0, v2 op_sel:[0,1] op_sel_hi:[1,0]
	v_bfi_b32 v2, 0xffff, v3, v0
	v_bfi_b32 v0, 0xffff, v0, v3
	ds_store_2addr_b32 v111, v30, v2 offset1:1
	ds_store_b32 v111, v0 offset:8
	v_pk_fma_f16 v0, v28, 0.5, v1 op_sel_hi:[1,0,1] neg_lo:[1,0,0] neg_hi:[1,0,0]
	v_pk_mul_f16 v1, 0x3aee, v29 op_sel_hi:[0,1]
	s_delay_alu instid0(VALU_DEP_1) | instskip(SKIP_1) | instid1(VALU_DEP_1)
	v_pk_add_f16 v2, v0, v1 op_sel:[0,1] op_sel_hi:[1,0] neg_lo:[0,1] neg_hi:[0,1]
	v_pk_add_f16 v0, v0, v1 op_sel:[0,1] op_sel_hi:[1,0]
	v_bfi_b32 v1, 0xffff, v2, v0
	v_bfi_b32 v0, 0xffff, v0, v2
	ds_store_2addr_b32 v110, v31, v1 offset1:1
	ds_store_b32 v110, v0 offset:8
	s_waitcnt lgkmcnt(0)
	s_barrier
	buffer_gl0_inv
	ds_load_2addr_b32 v[49:50], v255 offset0:52 offset1:142
	ds_load_2addr_b32 v[24:25], v190 offset1:90
	s_waitcnt lgkmcnt(1)
	v_lshrrev_b32_e32 v0, 16, v50
	v_mul_f16_e32 v1, v127, v50
	s_waitcnt lgkmcnt(0)
	v_lshrrev_b32_e32 v139, 16, v24
	s_delay_alu instid0(VALU_DEP_3) | instskip(NEXT) | instid1(VALU_DEP_3)
	v_mul_f16_e32 v101, v127, v0
	v_fma_f16 v110, v44, v0, -v1
	ds_load_2addr_b32 v[0:1], v242 offset0:28 offset1:118
	v_fmac_f16_e32 v101, v44, v50
	s_waitcnt lgkmcnt(0)
	v_lshrrev_b32_e32 v2, 16, v0
	v_mul_f16_e64 v3, v133, v0
	s_delay_alu instid0(VALU_DEP_2) | instskip(NEXT) | instid1(VALU_DEP_2)
	v_mul_f16_e64 v133, v133, v2
	v_fma_f16 v127, v45, v2, -v3
	ds_load_2addr_b32 v[2:3], v162 offset0:80 offset1:170
	v_fmac_f16_e64 v133, v45, v0
	s_waitcnt lgkmcnt(0)
	v_lshrrev_b32_e32 v4, 16, v3
	v_mul_f16_e32 v5, v126, v3
	s_delay_alu instid0(VALU_DEP_2) | instskip(NEXT) | instid1(VALU_DEP_2)
	v_mul_f16_e32 v126, v126, v4
	v_fma_f16 v111, v46, v4, -v5
	ds_load_2addr_b32 v[4:5], v128 offset0:56 offset1:146
	v_fmac_f16_e32 v126, v46, v3
	v_lshrrev_b32_e32 v3, 16, v1
	s_delay_alu instid0(VALU_DEP_1) | instskip(NEXT) | instid1(VALU_DEP_1)
	v_mul_f16_e32 v93, v118, v3
	v_fmac_f16_e32 v93, v41, v1
	s_waitcnt lgkmcnt(0)
	v_lshrrev_b32_e32 v6, 16, v4
	v_mul_f16_e64 v7, v136, v4
	s_delay_alu instid0(VALU_DEP_2) | instskip(NEXT) | instid1(VALU_DEP_2)
	v_mul_f16_e64 v169, v136, v6
	v_fma_f16 v136, v47, v6, -v7
	v_lshrrev_b32_e32 v6, 16, v5
	s_delay_alu instid0(VALU_DEP_3)
	v_fmac_f16_e64 v169, v47, v4
	v_mul_f16_e32 v4, v118, v1
	ds_load_2addr_b32 v[0:1], v135 offset0:104 offset1:194
	v_mul_f16_e32 v96, v102, v6
	v_fma_f16 v47, v41, v3, -v4
	ds_load_2addr_b32 v[3:4], v35 offset0:132 offset1:222
	v_fmac_f16_e32 v96, v43, v5
	v_mul_f16_e32 v5, v102, v5
	s_delay_alu instid0(VALU_DEP_1) | instskip(SKIP_3) | instid1(VALU_DEP_2)
	v_fma_f16 v50, v43, v6, -v5
	s_waitcnt lgkmcnt(1)
	v_lshrrev_b32_e32 v7, 16, v0
	v_mul_f16_e32 v8, v120, v0
	v_mul_f16_e32 v45, v120, v7
	s_delay_alu instid0(VALU_DEP_2)
	v_fma_f16 v46, v40, v7, -v8
	s_waitcnt lgkmcnt(0)
	v_lshrrev_b32_e32 v7, 16, v3
	v_mul_f16_e32 v8, v119, v3
	v_lshrrev_b32_e32 v5, 16, v4
	v_fmac_f16_e32 v45, v40, v0
	v_lshrrev_b32_e32 v0, 16, v1
	v_mul_f16_e32 v100, v119, v7
	v_fma_f16 v97, v42, v7, -v8
	v_mul_f16_e64 v6, v168, v4
	v_mov_b32_e32 v119, v34
	v_mul_f16_e64 v40, v166, v0
	v_fmac_f16_e32 v100, v42, v3
	v_lshrrev_b32_e32 v3, 16, v2
	v_mul_f16_e64 v42, v168, v5
	v_fma_f16 v43, v124, v5, -v6
	v_fmac_f16_e32 v40, v122, v1
	v_mul_f16_e64 v1, v166, v1
	v_mul_f16_e64 v41, v213, v3
	v_fmac_f16_e32 v42, v124, v4
	s_delay_alu instid0(VALU_DEP_3) | instskip(SKIP_3) | instid1(VALU_DEP_1)
	v_fma_f16 v28, v122, v0, -v1
	ds_load_2addr_b32 v[0:1], v98 offset0:108 offset1:198
	v_fmac_f16_e32 v41, v123, v2
	v_mul_f16_e64 v2, v213, v2
	v_fma_f16 v29, v123, v3, -v2
	s_waitcnt lgkmcnt(0)
	v_lshrrev_b32_e32 v2, 16, v0
	v_mul_f16_e64 v3, v245, v0
	s_delay_alu instid0(VALU_DEP_2) | instskip(NEXT) | instid1(VALU_DEP_2)
	v_mul_f16_e64 v44, v245, v2
	v_fma_f16 v30, v125, v2, -v3
	v_mul_f16_e64 v2, v173, v1
	s_delay_alu instid0(VALU_DEP_3) | instskip(SKIP_1) | instid1(VALU_DEP_1)
	v_fmac_f16_e32 v44, v125, v0
	v_lshrrev_b32_e32 v0, 16, v1
	v_mul_f16_e64 v124, v173, v0
	s_delay_alu instid0(VALU_DEP_4) | instskip(NEXT) | instid1(VALU_DEP_2)
	v_fma_f16 v122, v143, v0, -v2
	v_fmac_f16_e64 v124, v143, v1
	ds_load_2addr_b32 v[0:1], v176 offset0:84 offset1:174
	s_waitcnt lgkmcnt(0)
	v_lshrrev_b32_e32 v2, 16, v0
	v_mul_f16_e64 v3, v129, v0
	s_delay_alu instid0(VALU_DEP_2) | instskip(NEXT) | instid1(VALU_DEP_2)
	v_mul_f16_e64 v164, v129, v2
	v_fma_f16 v161, v144, v2, -v3
	ds_load_2addr_b32 v[2:3], v163 offset0:8 offset1:98
	v_fmac_f16_e64 v164, v144, v0
	s_delay_alu instid0(VALU_DEP_1) | instskip(SKIP_3) | instid1(VALU_DEP_2)
	v_sub_f16_e64 v11, v169, v164
	s_waitcnt lgkmcnt(0)
	v_lshrrev_b32_e32 v4, 16, v3
	v_mul_f16_e64 v5, v172, v3
	v_mul_f16_e64 v125, v172, v4
	s_delay_alu instid0(VALU_DEP_2) | instskip(SKIP_4) | instid1(VALU_DEP_3)
	v_fma_f16 v123, v145, v4, -v5
	ds_load_2addr_b32 v[4:5], v185 offset0:112 offset1:202
	v_fmac_f16_e64 v125, v145, v3
	v_lshrrev_b32_e32 v3, 16, v1
	v_sub_f16_e64 v173, v122, v123
	v_sub_f16_e64 v172, v124, v125
	s_delay_alu instid0(VALU_DEP_3) | instskip(NEXT) | instid1(VALU_DEP_1)
	v_mul_f16_e32 v118, v108, v3
	v_fmac_f16_e32 v118, v37, v1
	s_waitcnt lgkmcnt(0)
	v_lshrrev_b32_e32 v6, 16, v4
	v_mul_f16_e32 v7, v121, v4
	s_delay_alu instid0(VALU_DEP_2) | instskip(NEXT) | instid1(VALU_DEP_2)
	v_mul_f16_e64 v170, v121, v6
	v_fma_f16 v168, v146, v6, -v7
	v_lshrrev_b32_e32 v6, 16, v5
	s_delay_alu instid0(VALU_DEP_3)
	v_fmac_f16_e64 v170, v146, v4
	v_mul_f16_e32 v4, v108, v1
	ds_load_2addr_b32 v[0:1], v34 offset0:160 offset1:250
	v_mul_f16_e32 v121, v103, v6
	v_add_f16_e64 v14, v127, v168
	v_sub_f16_e64 v9, v133, v170
	v_fma_f16 v91, v37, v3, -v4
	ds_load_2addr_b32 v[3:4], v241 offset0:60 offset1:150
	v_fmac_f16_e32 v121, v39, v5
	v_mul_f16_e32 v5, v103, v5
	v_add_f16_e64 v13, v133, v170
	v_sub_f16_e64 v15, v161, v168
	s_delay_alu instid0(VALU_DEP_3) | instskip(SKIP_1) | instid1(VALU_DEP_4)
	v_fma_f16 v39, v39, v6, -v5
	v_lshrrev_b32_e32 v5, 16, v148
	v_fma_f16 v13, -0.5, v13, v24
	s_delay_alu instid0(VALU_DEP_3) | instskip(SKIP_3) | instid1(VALU_DEP_2)
	v_sub_f16_e32 v48, v39, v91
	s_waitcnt lgkmcnt(1)
	v_lshrrev_b32_e32 v7, 16, v0
	v_mul_f16_e64 v8, v134, v0
	v_mul_f16_e64 v108, v134, v7
	s_delay_alu instid0(VALU_DEP_2)
	v_fma_f16 v102, v36, v7, -v8
	s_waitcnt lgkmcnt(0)
	v_lshrrev_b32_e32 v7, 16, v3
	v_mul_f16_e32 v8, v109, v3
	v_mul_f16_e64 v6, v254, v4
	v_fmac_f16_e32 v108, v36, v0
	v_lshrrev_b32_e32 v0, 16, v1
	v_mul_f16_e32 v109, v109, v7
	v_fma_f16 v103, v38, v7, -v8
	v_sub_f16_e64 v7, v136, v161
	s_delay_alu instid0(VALU_DEP_4) | instskip(NEXT) | instid1(VALU_DEP_4)
	v_mul_f16_e64 v32, v247, v0
	v_fmac_f16_e32 v109, v38, v3
	v_lshrrev_b32_e32 v3, 16, v2
	s_delay_alu instid0(VALU_DEP_4) | instskip(SKIP_4) | instid1(VALU_DEP_2)
	v_fmamk_f16 v16, v7, 0x3b9c, v13
	v_fmac_f16_e32 v13, 0xbb9c, v7
	v_fmac_f16_e64 v32, v147, v1
	v_mul_f16_e64 v1, v247, v1
	v_mul_f16_e32 v35, v5, v3
	v_fma_f16 v34, v147, v0, -v1
	ds_load_2addr_b32 v[0:1], v178 offset0:36 offset1:126
	v_fmac_f16_e64 v35, v148, v2
	v_mul_f16_e32 v2, v5, v2
	v_lshrrev_b32_e32 v5, 16, v4
	s_delay_alu instid0(VALU_DEP_2) | instskip(NEXT) | instid1(VALU_DEP_2)
	v_fma_f16 v31, v148, v3, -v2
	v_mul_f16_e64 v33, v254, v5
	v_fma_f16 v36, v149, v5, -v6
	v_sub_f16_e64 v5, v127, v168
	s_delay_alu instid0(VALU_DEP_3) | instskip(SKIP_1) | instid1(VALU_DEP_3)
	v_fmac_f16_e64 v33, v149, v4
	v_lshrrev_b32_e32 v4, 16, v150
	v_fmac_f16_e32 v16, 0xb8b4, v5
	v_fmac_f16_e32 v13, 0x38b4, v5
	s_waitcnt lgkmcnt(0)
	v_lshrrev_b32_e32 v2, 16, v0
	v_mul_f16_e32 v3, v4, v0
	s_delay_alu instid0(VALU_DEP_2) | instskip(NEXT) | instid1(VALU_DEP_2)
	v_mul_f16_e32 v37, v4, v2
	v_fma_f16 v26, v150, v2, -v3
	v_mul_f16_e64 v2, v165, v1
	v_add_f16_e32 v3, v110, v111
	s_delay_alu instid0(VALU_DEP_4) | instskip(SKIP_1) | instid1(VALU_DEP_3)
	v_fmac_f16_e64 v37, v150, v0
	v_lshrrev_b32_e32 v0, 16, v1
	v_add_f16_e32 v3, v3, v122
	s_delay_alu instid0(VALU_DEP_2)
	v_mul_f16_e64 v144, v165, v0
	v_fma_f16 v38, v184, v0, -v2
	v_sub_f16_e64 v0, v133, v169
	v_add_f16_e32 v2, v101, v126
	v_add_f16_e32 v3, v3, v123
	v_fmac_f16_e64 v144, v184, v1
	v_sub_f16_e64 v1, v170, v164
	v_sub_f16_e64 v182, v111, v38
	v_add_f16_e32 v2, v2, v124
	s_delay_alu instid0(VALU_DEP_4) | instskip(NEXT) | instid1(VALU_DEP_4)
	v_sub_f16_e64 v174, v126, v144
	v_add_f16_e32 v27, v0, v1
	v_sub_f16_e64 v0, v127, v136
	v_sub_f16_e64 v1, v168, v161
	v_add_f16_e32 v2, v2, v125
	s_delay_alu instid0(VALU_DEP_2) | instskip(SKIP_2) | instid1(VALU_DEP_4)
	v_add_f16_e32 v92, v0, v1
	v_sub_f16_e32 v0, v126, v124
	v_sub_f16_e64 v1, v144, v125
	v_add_f16_e64 v106, v2, v144
	v_add_f16_e32 v2, v3, v38
	s_delay_alu instid0(VALU_DEP_3) | instskip(SKIP_2) | instid1(VALU_DEP_1)
	v_add_f16_e64 v145, v0, v1
	v_sub_f16_e32 v0, v111, v122
	v_sub_f16_e32 v1, v38, v123
	v_add_f16_e64 v171, v0, v1
	v_add_f16_e32 v0, v124, v125
	s_delay_alu instid0(VALU_DEP_1) | instskip(SKIP_1) | instid1(VALU_DEP_2)
	v_fma_f16 v146, -0.5, v0, v101
	v_add_f16_e32 v0, v122, v123
	v_fma_f16 v1, 0xbb9c, v182, v146
	s_delay_alu instid0(VALU_DEP_2) | instskip(SKIP_1) | instid1(VALU_DEP_3)
	v_fma_f16 v160, -0.5, v0, v110
	v_fmac_f16_e64 v146, 0x3b9c, v182
	v_fmac_f16_e64 v1, 0xb8b4, v173
	s_delay_alu instid0(VALU_DEP_3) | instskip(SKIP_1) | instid1(VALU_DEP_4)
	v_fma_f16 v0, 0x3b9c, v174, v160
	v_fmac_f16_e64 v160, 0xbb9c, v174
	v_fmac_f16_e64 v146, 0x38b4, v173
	s_delay_alu instid0(VALU_DEP_4) | instskip(NEXT) | instid1(VALU_DEP_4)
	v_fmac_f16_e64 v1, 0x34f2, v145
	v_fmac_f16_e64 v0, 0x38b4, v172
	s_delay_alu instid0(VALU_DEP_4) | instskip(NEXT) | instid1(VALU_DEP_4)
	v_fmac_f16_e64 v160, 0xb8b4, v172
	v_fmac_f16_e64 v146, 0x34f2, v145
	s_delay_alu instid0(VALU_DEP_3) | instskip(NEXT) | instid1(VALU_DEP_3)
	v_fmac_f16_e64 v0, 0x34f2, v171
	v_fmac_f16_e64 v160, 0x34f2, v171
	s_delay_alu instid0(VALU_DEP_2) | instskip(SKIP_2) | instid1(VALU_DEP_3)
	v_mul_f16_e64 v184, 0xb8b4, v0
	v_mul_f16_e64 v140, 0x3a79, v0
	v_add_f16_e64 v0, v24, v133
	v_fmac_f16_e64 v184, 0x3a79, v1
	s_delay_alu instid0(VALU_DEP_3) | instskip(SKIP_1) | instid1(VALU_DEP_4)
	v_fmac_f16_e64 v140, 0x38b4, v1
	v_add_f16_e64 v1, v139, v127
	v_add_f16_e64 v0, v0, v169
	s_delay_alu instid0(VALU_DEP_2) | instskip(NEXT) | instid1(VALU_DEP_2)
	v_add_f16_e64 v1, v1, v136
	v_add_f16_e64 v0, v0, v164
	s_delay_alu instid0(VALU_DEP_2) | instskip(NEXT) | instid1(VALU_DEP_2)
	;; [unrolled: 3-line block ×3, first 2 shown]
	v_add_f16_e64 v142, v1, v168
	v_add_f16_e64 v0, v141, v106
	s_delay_alu instid0(VALU_DEP_2) | instskip(SKIP_1) | instid1(VALU_DEP_2)
	v_add_f16_e64 v1, v142, v2
	v_sub_f16_e64 v2, v142, v2
	v_pack_b32_f16 v3, v0, v1
	v_add_f16_e64 v0, v169, v164
	s_delay_alu instid0(VALU_DEP_1) | instskip(SKIP_2) | instid1(VALU_DEP_3)
	v_fma_f16 v4, -0.5, v0, v24
	v_add_f16_e64 v0, v136, v161
	v_sub_f16_e32 v24, v93, v96
	v_fmamk_f16 v6, v5, 0xbb9c, v4
	s_delay_alu instid0(VALU_DEP_3)
	v_fma_f16 v8, -0.5, v0, v139
	v_fmac_f16_e64 v139, -0.5, v14
	v_add_f16_e64 v14, v126, v144
	v_fmac_f16_e32 v4, 0x3b9c, v5
	v_fmac_f16_e32 v6, 0xb8b4, v7
	v_fmamk_f16 v10, v9, 0x3b9c, v8
	v_fma_f16 v17, 0xbb9c, v11, v139
	v_fmac_f16_e64 v139, 0x3b9c, v11
	v_fmac_f16_e32 v101, -0.5, v14
	v_fmac_f16_e32 v6, 0x34f2, v27
	v_fmac_f16_e32 v10, 0x38b4, v11
	;; [unrolled: 1-line block ×3, first 2 shown]
	v_fmac_f16_e64 v139, 0xb8b4, v9
	v_sub_f16_e32 v14, v123, v38
	v_add_f16_e64 v0, v6, v184
	v_fmac_f16_e32 v10, 0x34f2, v92
	v_fmac_f16_e32 v8, 0xbb9c, v9
	;; [unrolled: 1-line block ×3, first 2 shown]
	v_mul_f16_e64 v5, 0xb8b4, v160
	v_mul_f16_e64 v7, 0xba79, v160
	v_add_f16_e64 v1, v10, v140
	v_fmac_f16_e32 v8, 0xb8b4, v11
	v_fmac_f16_e32 v4, 0x34f2, v27
	v_fmac_f16_e64 v5, 0xba79, v146
	v_fmac_f16_e64 v7, 0x38b4, v146
	v_pack_b32_f16 v12, v0, v1
	ds_load_2addr_b32 v[0:1], v99 offset0:88 offset1:178
	s_waitcnt lgkmcnt(0)
	s_barrier
	buffer_gl0_inv
	ds_store_2addr_b32 v236, v3, v12 offset1:3
	v_sub_f16_e64 v3, v169, v133
	v_sub_f16_e64 v12, v164, v170
	v_fmac_f16_e32 v8, 0x34f2, v92
	v_sub_f16_e64 v9, v141, v106
	v_add_f16_e32 v11, v4, v5
	v_sub_f16_e32 v27, v96, v118
	v_add_f16_e32 v3, v3, v12
	v_sub_f16_e64 v12, v136, v127
	v_pack_b32_f16 v2, v9, v2
	s_delay_alu instid0(VALU_DEP_3) | instskip(SKIP_1) | instid1(VALU_DEP_4)
	v_fmac_f16_e32 v16, 0x34f2, v3
	v_fmac_f16_e32 v13, 0x34f2, v3
	v_add_f16_e32 v3, v12, v15
	v_sub_f16_e32 v12, v124, v126
	v_sub_f16_e64 v15, v125, v144
	s_delay_alu instid0(VALU_DEP_3) | instskip(SKIP_1) | instid1(VALU_DEP_3)
	v_fmac_f16_e32 v17, 0x34f2, v3
	v_fmac_f16_e64 v139, 0x34f2, v3
	v_add_f16_e32 v3, v12, v15
	v_add_f16_e32 v12, v111, v38
	v_fma_f16 v15, 0x3b9c, v173, v101
	v_fmac_f16_e64 v101, 0xbb9c, v173
	v_sub_f16_e32 v38, v47, v50
	s_delay_alu instid0(VALU_DEP_4)
	v_fmac_f16_e32 v110, -0.5, v12
	v_sub_f16_e32 v12, v122, v111
	v_fmac_f16_e64 v15, 0xb8b4, v182
	v_fmac_f16_e64 v101, 0x38b4, v182
	v_add_f16_e32 v38, v38, v48
	v_sub_f16_e32 v48, v100, v108
	s_delay_alu instid0(VALU_DEP_4) | instskip(NEXT) | instid1(VALU_DEP_4)
	v_fmac_f16_e32 v15, 0x34f2, v3
	v_fmac_f16_e32 v101, 0x34f2, v3
	v_add_f16_e32 v3, v12, v14
	v_fma_f16 v12, 0xbb9c, v172, v110
	v_fmac_f16_e64 v110, 0x3b9c, v172
	s_delay_alu instid0(VALU_DEP_2) | instskip(NEXT) | instid1(VALU_DEP_2)
	v_fmac_f16_e64 v12, 0x38b4, v174
	v_fmac_f16_e64 v110, 0xb8b4, v174
	s_delay_alu instid0(VALU_DEP_2) | instskip(NEXT) | instid1(VALU_DEP_2)
	v_fmac_f16_e32 v12, 0x34f2, v3
	v_fmac_f16_e32 v110, 0x34f2, v3
	s_delay_alu instid0(VALU_DEP_2) | instskip(SKIP_1) | instid1(VALU_DEP_3)
	v_mul_f16_e32 v3, 0xbb9c, v12
	v_mul_f16_e32 v12, 0x34f2, v12
	;; [unrolled: 1-line block ×3, first 2 shown]
	s_delay_alu instid0(VALU_DEP_3) | instskip(NEXT) | instid1(VALU_DEP_3)
	v_fmac_f16_e32 v3, 0x34f2, v15
	v_fmac_f16_e32 v12, 0x3b9c, v15
	v_mul_f16_e32 v15, 0xb4f2, v110
	s_delay_alu instid0(VALU_DEP_4) | instskip(NEXT) | instid1(VALU_DEP_4)
	v_fmac_f16_e32 v14, 0xb4f2, v101
	v_add_f16_e32 v18, v16, v3
	s_delay_alu instid0(VALU_DEP_4) | instskip(NEXT) | instid1(VALU_DEP_4)
	v_add_f16_e32 v19, v17, v12
	v_fmac_f16_e32 v15, 0x3b9c, v101
	v_sub_f16_e32 v3, v16, v3
	v_sub_f16_e32 v9, v17, v12
	v_add_f16_e32 v12, v46, v97
	v_pack_b32_f16 v18, v18, v19
	v_add_f16_e32 v19, v13, v14
	v_add_f16_e64 v20, v139, v15
	v_pack_b32_f16 v3, v3, v9
	v_add_f16_e32 v9, v45, v100
	v_sub_f16_e32 v16, v102, v103
	v_add_f16_e32 v12, v12, v102
	v_pack_b32_f16 v19, v19, v20
	s_delay_alu instid0(VALU_DEP_4) | instskip(NEXT) | instid1(VALU_DEP_3)
	v_add_f16_e32 v9, v9, v108
	v_add_f16_e32 v12, v12, v103
	ds_store_2addr_b32 v236, v18, v19 offset0:6 offset1:9
	v_add_f16_e32 v18, v8, v7
	v_add_f16_e32 v9, v9, v109
	s_delay_alu instid0(VALU_DEP_2) | instskip(SKIP_4) | instid1(VALU_DEP_1)
	v_pack_b32_f16 v11, v11, v18
	v_sub_f16_e32 v18, v108, v109
	ds_store_2addr_b32 v236, v11, v2 offset0:12 offset1:15
	v_sub_f16_e64 v2, v6, v184
	v_sub_f16_e64 v6, v10, v140
	v_pack_b32_f16 v2, v2, v6
	v_add_f16_e32 v6, v25, v93
	ds_store_2addr_b32 v236, v2, v3 offset0:18 offset1:21
	v_sub_f16_e32 v2, v13, v14
	v_sub_f16_e32 v3, v4, v5
	v_sub_f16_e64 v4, v139, v15
	v_sub_f16_e32 v5, v8, v7
	v_sub_f16_e32 v7, v118, v121
	;; [unrolled: 1-line block ×3, first 2 shown]
	v_add_f16_e32 v6, v6, v96
	v_pack_b32_f16 v2, v2, v4
	v_pack_b32_f16 v3, v3, v5
	v_lshrrev_b32_e32 v4, 16, v201
	v_lshrrev_b32_e32 v5, 16, v25
	v_add_f16_e32 v6, v6, v118
	ds_store_2addr_b32 v236, v2, v3 offset0:24 offset1:27
	v_lshrrev_b32_e32 v2, 16, v0
	v_mul_f16_e32 v3, v4, v0
	v_add_f16_e32 v6, v6, v121
	s_delay_alu instid0(VALU_DEP_3) | instskip(NEXT) | instid1(VALU_DEP_3)
	v_mul_f16_e32 v4, v4, v2
	v_fma_f16 v2, v201, v2, -v3
	v_add_f16_e32 v3, v93, v121
	s_delay_alu instid0(VALU_DEP_3) | instskip(SKIP_1) | instid1(VALU_DEP_4)
	v_fmac_f16_e64 v4, v201, v0
	v_add_f16_e32 v0, v96, v118
	v_add_f16_e32 v11, v97, v2
	v_sub_f16_e32 v13, v103, v2
	v_sub_f16_e32 v21, v97, v2
	v_add_f16_e32 v8, v100, v4
	v_fma_f16 v0, -0.5, v0, v25
	v_fmac_f16_e32 v25, -0.5, v3
	v_sub_f16_e32 v3, v96, v93
	v_sub_f16_e32 v10, v109, v4
	;; [unrolled: 1-line block ×4, first 2 shown]
	v_add_f16_e32 v4, v9, v4
	v_add_f16_e32 v3, v3, v7
	;; [unrolled: 1-line block ×3, first 2 shown]
	s_delay_alu instid0(VALU_DEP_4) | instskip(SKIP_2) | instid1(VALU_DEP_4)
	v_add_f16_e32 v9, v48, v92
	v_sub_f16_e32 v48, v97, v102
	v_sub_f16_e32 v92, v2, v103
	v_fma_f16 v7, -0.5, v7, v45
	v_fmac_f16_e32 v45, -0.5, v8
	v_sub_f16_e32 v8, v108, v100
	v_add_f16_e32 v2, v12, v2
	v_add_f16_e32 v12, v48, v92
	v_fmamk_f16 v92, v21, 0xbb9c, v7
	v_fmamk_f16 v17, v16, 0x3b9c, v45
	v_add_f16_e32 v8, v8, v10
	v_add_f16_e32 v10, v102, v103
	v_fmac_f16_e32 v45, 0xbb9c, v16
	v_fmac_f16_e32 v92, 0xb8b4, v16
	v_add_f16_e32 v96, v6, v4
	v_fmamk_f16 v100, v15, 0xbb9c, v0
	v_fma_f16 v10, -0.5, v10, v46
	v_fmac_f16_e32 v46, -0.5, v11
	v_sub_f16_e32 v11, v102, v97
	v_fmac_f16_e32 v45, 0x38b4, v21
	v_fmac_f16_e32 v92, 0x34f2, v9
	v_fmamk_f16 v48, v20, 0x3b9c, v10
	v_fmamk_f16 v19, v18, 0xbb9c, v46
	v_fmac_f16_e32 v46, 0x3b9c, v18
	v_add_f16_e32 v11, v11, v13
	v_sub_f16_e32 v13, v50, v91
	v_fmac_f16_e32 v45, 0x34f2, v8
	v_fmac_f16_e32 v48, 0x38b4, v18
	;; [unrolled: 1-line block ×4, first 2 shown]
	v_fmamk_f16 v14, v13, 0x3b9c, v25
	v_fmac_f16_e32 v25, 0xbb9c, v13
	v_fmac_f16_e32 v48, 0x34f2, v12
	;; [unrolled: 1-line block ×7, first 2 shown]
	v_mul_f16_e32 v22, 0xbb9c, v46
	v_fmac_f16_e32 v14, 0xb8b4, v15
	v_fmac_f16_e32 v0, 0x3b9c, v15
	;; [unrolled: 1-line block ×9, first 2 shown]
	v_add_f16_e32 v23, v25, v22
	v_sub_f16_e32 v22, v25, v22
	v_sub_f16_e32 v25, v121, v118
	v_fmac_f16_e32 v7, 0x34f2, v9
	v_mul_f16_e32 v9, 0xb8b4, v10
	v_mul_f16_e32 v10, 0xba79, v10
	v_fmac_f16_e32 v19, 0x34f2, v11
	v_add_f16_e32 v24, v24, v25
	v_sub_f16_e32 v25, v93, v121
	v_mul_f16_e32 v93, 0xb8b4, v48
	v_mul_f16_e32 v48, 0x3a79, v48
	v_fmac_f16_e32 v17, 0xb8b4, v21
	v_fmac_f16_e32 v100, 0x34f2, v24
	;; [unrolled: 1-line block ×5, first 2 shown]
	v_add_f16_e32 v92, v5, v47
	v_fmac_f16_e32 v9, 0xba79, v7
	v_fmac_f16_e32 v10, 0x38b4, v7
	v_add_f16_e32 v102, v100, v93
	v_fmac_f16_e32 v17, 0x34f2, v8
	v_add_f16_e32 v92, v92, v50
	v_mul_f16_e32 v8, 0x34f2, v19
	v_sub_f16_e32 v4, v6, v4
	v_add_f16_e32 v6, v0, v9
	v_mul_f16_e32 v11, 0xb4f2, v46
	v_add_f16_e32 v92, v92, v91
	v_fmac_f16_e32 v8, 0x3b9c, v17
	v_sub_f16_e32 v0, v0, v9
	v_sub_f16_e32 v15, v34, v36
	v_fmac_f16_e32 v11, 0x3b9c, v45
	v_add_f16_e32 v92, v92, v39
	v_sub_f16_e32 v24, v37, v35
	s_delay_alu instid0(VALU_DEP_2) | instskip(SKIP_1) | instid1(VALU_DEP_2)
	v_add_f16_e32 v97, v92, v2
	v_sub_f16_e32 v2, v92, v2
	v_pack_b32_f16 v96, v96, v97
	v_add_f16_e32 v97, v50, v91
	s_delay_alu instid0(VALU_DEP_3) | instskip(NEXT) | instid1(VALU_DEP_2)
	v_pack_b32_f16 v2, v4, v2
	v_fma_f16 v97, -0.5, v97, v5
	s_delay_alu instid0(VALU_DEP_1) | instskip(SKIP_1) | instid1(VALU_DEP_2)
	v_fmamk_f16 v101, v25, 0x3b9c, v97
	v_fmac_f16_e32 v97, 0xbb9c, v25
	v_fmac_f16_e32 v101, 0x38b4, v27
	s_delay_alu instid0(VALU_DEP_2) | instskip(NEXT) | instid1(VALU_DEP_2)
	v_fmac_f16_e32 v97, 0xb8b4, v27
	v_fmac_f16_e32 v101, 0x34f2, v38
	s_delay_alu instid0(VALU_DEP_2) | instskip(NEXT) | instid1(VALU_DEP_2)
	v_fmac_f16_e32 v97, 0x34f2, v38
	v_add_f16_e32 v103, v101, v48
	s_delay_alu instid0(VALU_DEP_2) | instskip(SKIP_1) | instid1(VALU_DEP_3)
	v_add_f16_e32 v7, v97, v10
	v_sub_f16_e32 v4, v101, v48
	v_pack_b32_f16 v102, v102, v103
	s_delay_alu instid0(VALU_DEP_3)
	v_pack_b32_f16 v6, v6, v7
	ds_store_2addr_b32 v235, v96, v102 offset1:3
	v_add_f16_e32 v96, v47, v39
	v_sub_f16_e32 v47, v50, v47
	v_sub_f16_e32 v39, v91, v39
	ds_store_2addr_b32 v235, v6, v2 offset0:12 offset1:15
	v_sub_f16_e32 v2, v100, v93
	v_fmac_f16_e32 v5, -0.5, v96
	v_add_f16_e32 v3, v47, v39
	s_delay_alu instid0(VALU_DEP_3) | instskip(NEXT) | instid1(VALU_DEP_3)
	v_pack_b32_f16 v2, v2, v4
	v_fmamk_f16 v39, v27, 0xbb9c, v5
	v_fmac_f16_e32 v5, 0x3b9c, v27
	v_lshrrev_b32_e32 v4, 16, v49
	v_sub_f16_e32 v27, v29, v30
	s_delay_alu instid0(VALU_DEP_4) | instskip(NEXT) | instid1(VALU_DEP_4)
	v_fmac_f16_e32 v39, 0x38b4, v25
	v_fmac_f16_e32 v5, 0xb8b4, v25
	v_sub_f16_e32 v25, v44, v35
	s_delay_alu instid0(VALU_DEP_3) | instskip(NEXT) | instid1(VALU_DEP_3)
	v_fmac_f16_e32 v39, 0x34f2, v3
	v_fmac_f16_e32 v5, 0x34f2, v3
	v_mul_f16_e32 v3, 0xbb9c, v19
	s_delay_alu instid0(VALU_DEP_3) | instskip(SKIP_1) | instid1(VALU_DEP_3)
	v_sub_f16_e32 v6, v39, v8
	v_add_f16_e32 v19, v39, v8
	v_fmac_f16_e32 v3, 0x34f2, v17
	v_add_f16_e32 v8, v40, v42
	s_delay_alu instid0(VALU_DEP_2) | instskip(SKIP_1) | instid1(VALU_DEP_3)
	v_add_f16_e32 v17, v14, v3
	v_sub_f16_e32 v3, v14, v3
	v_add_f16_e32 v8, v8, v32
	v_sub_f16_e32 v14, v29, v26
	s_delay_alu instid0(VALU_DEP_4) | instskip(NEXT) | instid1(VALU_DEP_4)
	v_pack_b32_f16 v17, v17, v19
	v_pack_b32_f16 v3, v3, v6
	v_add_f16_e32 v19, v5, v11
	v_sub_f16_e32 v6, v35, v37
	v_add_f16_e32 v8, v8, v33
	ds_store_2addr_b32 v235, v2, v3 offset0:18 offset1:21
	v_sub_f16_e32 v2, v5, v11
	v_sub_f16_e32 v3, v97, v10
	v_add_f16_e32 v5, v49, v41
	v_pack_b32_f16 v19, v23, v19
	v_add_f16_e32 v11, v28, v43
	v_pack_b32_f16 v2, v22, v2
	v_pack_b32_f16 v0, v0, v3
	v_lshrrev_b32_e32 v3, 16, v186
	ds_store_2addr_b32 v235, v17, v19 offset0:6 offset1:9
	v_sub_f16_e32 v17, v32, v33
	v_add_f16_e32 v11, v11, v34
	ds_store_2addr_b32 v235, v2, v0 offset0:24 offset1:27
	v_lshrrev_b32_e32 v0, 16, v1
	v_add_f16_e32 v5, v5, v44
	v_sub_f16_e32 v23, v41, v44
	v_add_f16_e32 v11, v11, v36
	s_delay_alu instid0(VALU_DEP_4)
	v_mul_f16_e32 v2, v3, v0
	v_mul_f16_e32 v3, v3, v1
	v_add_f16_e32 v5, v5, v35
	v_add_f16_e32 v23, v23, v24
	v_sub_f16_e32 v24, v41, v37
	v_fmac_f16_e64 v2, v186, v1
	v_fma_f16 v0, v186, v0, -v3
	v_add_f16_e32 v1, v44, v35
	v_add_f16_e32 v3, v41, v37
	v_add_f16_e32 v5, v5, v37
	v_add_f16_e32 v7, v42, v2
	v_sub_f16_e32 v9, v33, v2
	v_fma_f16 v1, -0.5, v1, v49
	v_fmac_f16_e32 v49, -0.5, v3
	v_sub_f16_e32 v3, v44, v41
	v_sub_f16_e32 v19, v42, v2
	v_add_f16_e32 v10, v43, v0
	v_sub_f16_e32 v12, v36, v0
	v_sub_f16_e32 v20, v43, v0
	v_add_f16_e32 v3, v3, v6
	v_add_f16_e32 v6, v32, v33
	v_sub_f16_e32 v33, v2, v33
	v_add_f16_e32 v2, v8, v2
	v_sub_f16_e32 v35, v26, v31
	v_fmamk_f16 v37, v14, 0xbb9c, v1
	v_fma_f16 v6, -0.5, v6, v40
	v_fmac_f16_e32 v40, -0.5, v7
	v_sub_f16_e32 v7, v32, v42
	v_sub_f16_e32 v32, v42, v32
	v_add_f16_e32 v27, v27, v35
	v_add_f16_e32 v35, v5, v2
	v_fmac_f16_e32 v1, 0x3b9c, v14
	v_add_f16_e32 v7, v7, v9
	v_add_f16_e32 v9, v34, v36
	;; [unrolled: 1-line block ×3, first 2 shown]
	v_sub_f16_e32 v32, v43, v34
	v_sub_f16_e32 v33, v0, v36
	v_add_f16_e32 v0, v11, v0
	v_fma_f16 v9, -0.5, v9, v28
	v_fmac_f16_e32 v28, -0.5, v10
	v_sub_f16_e32 v10, v34, v43
	v_add_f16_e32 v11, v32, v33
	v_fmamk_f16 v33, v20, 0xbb9c, v6
	v_fmamk_f16 v32, v19, 0x3b9c, v9
	v_fmac_f16_e32 v9, 0xbb9c, v19
	v_add_f16_e32 v10, v10, v12
	v_sub_f16_e32 v12, v30, v31
	v_fmac_f16_e32 v33, 0xb8b4, v15
	v_fmac_f16_e32 v32, 0x38b4, v17
	;; [unrolled: 1-line block ×7, first 2 shown]
	v_fmamk_f16 v13, v12, 0x3b9c, v49
	v_fmac_f16_e32 v49, 0xbb9c, v12
	v_fmac_f16_e32 v37, 0x34f2, v23
	v_fmamk_f16 v18, v17, 0xbb9c, v28
	v_mul_f16_e32 v34, 0xb8b4, v32
	v_mul_f16_e32 v32, 0x3a79, v32
	v_fmac_f16_e32 v49, 0x38b4, v14
	v_fmac_f16_e32 v13, 0xb8b4, v14
	;; [unrolled: 1-line block ×5, first 2 shown]
	v_add_f16_e32 v33, v4, v29
	v_fmac_f16_e32 v9, 0x34f2, v11
	v_fmamk_f16 v16, v15, 0x3b9c, v40
	v_add_f16_e32 v39, v37, v34
	v_fmac_f16_e32 v40, 0xbb9c, v15
	v_add_f16_e32 v33, v33, v30
	v_fmac_f16_e32 v49, 0x34f2, v3
	v_fmac_f16_e32 v13, 0x34f2, v3
	;; [unrolled: 1-line block ×4, first 2 shown]
	v_add_f16_e32 v33, v33, v31
	v_fmac_f16_e32 v6, 0x34f2, v8
	v_mul_f16_e32 v8, 0xb8b4, v9
	v_mul_f16_e32 v9, 0xba79, v9
	v_fmac_f16_e32 v28, 0x3b9c, v17
	v_add_f16_e32 v33, v33, v26
	v_fmac_f16_e32 v40, 0x38b4, v20
	v_fmac_f16_e32 v18, 0x34f2, v10
	;; [unrolled: 1-line block ×4, first 2 shown]
	v_add_f16_e32 v36, v33, v0
	v_fmac_f16_e32 v8, 0xba79, v6
	v_fmac_f16_e32 v9, 0x38b4, v6
	;; [unrolled: 1-line block ×4, first 2 shown]
	v_pack_b32_f16 v35, v35, v36
	v_add_f16_e32 v36, v30, v31
	v_fmac_f16_e32 v16, 0x34f2, v7
	v_mul_f16_e32 v7, 0x34f2, v18
	v_sub_f16_e32 v2, v5, v2
	v_sub_f16_e32 v0, v33, v0
	v_fma_f16 v36, -0.5, v36, v4
	v_add_f16_e32 v5, v1, v8
	v_fmac_f16_e32 v28, 0x34f2, v10
	v_fmac_f16_e32 v7, 0x3b9c, v16
	v_pack_b32_f16 v0, v2, v0
	v_fmamk_f16 v38, v24, 0x3b9c, v36
	v_fmac_f16_e32 v36, 0xbb9c, v24
	v_mul_f16_e32 v21, 0xbb9c, v28
	v_mul_f16_e32 v10, 0xb4f2, v28
	v_lshrrev_b32_e32 v12, 16, v151
	v_fmac_f16_e32 v38, 0x38b4, v25
	v_fmac_f16_e32 v36, 0xb8b4, v25
	;; [unrolled: 1-line block ×4, first 2 shown]
	s_delay_alu instid0(VALU_DEP_4) | instskip(NEXT) | instid1(VALU_DEP_4)
	v_fmac_f16_e32 v38, 0x34f2, v27
	v_fmac_f16_e32 v36, 0x34f2, v27
	s_delay_alu instid0(VALU_DEP_4) | instskip(SKIP_1) | instid1(VALU_DEP_4)
	v_add_f16_e32 v22, v49, v21
	v_sub_f16_e32 v21, v49, v21
	v_add_f16_e32 v41, v38, v32
	s_delay_alu instid0(VALU_DEP_4) | instskip(NEXT) | instid1(VALU_DEP_2)
	v_add_f16_e32 v6, v36, v9
	v_pack_b32_f16 v39, v39, v41
	s_delay_alu instid0(VALU_DEP_2)
	v_pack_b32_f16 v5, v5, v6
	ds_store_2addr_b32 v232, v35, v39 offset1:3
	v_add_f16_e32 v35, v29, v26
	v_sub_f16_e32 v29, v30, v29
	v_sub_f16_e32 v26, v31, v26
	ds_store_2addr_b32 v232, v5, v0 offset0:12 offset1:15
	v_sub_f16_e32 v0, v37, v34
	v_fmac_f16_e32 v4, -0.5, v35
	v_add_f16_e32 v3, v29, v26
	s_delay_alu instid0(VALU_DEP_2) | instskip(SKIP_1) | instid1(VALU_DEP_2)
	v_fmamk_f16 v26, v25, 0xbb9c, v4
	v_fmac_f16_e32 v4, 0x3b9c, v25
	v_fmac_f16_e32 v26, 0x38b4, v24
	s_delay_alu instid0(VALU_DEP_2) | instskip(NEXT) | instid1(VALU_DEP_2)
	v_fmac_f16_e32 v4, 0xb8b4, v24
	v_fmac_f16_e32 v26, 0x34f2, v3
	s_delay_alu instid0(VALU_DEP_2) | instskip(SKIP_1) | instid1(VALU_DEP_3)
	v_fmac_f16_e32 v4, 0x34f2, v3
	v_mul_f16_e32 v3, 0xbb9c, v18
	v_sub_f16_e32 v5, v26, v7
	v_add_f16_e32 v18, v26, v7
	s_delay_alu instid0(VALU_DEP_3) | instskip(NEXT) | instid1(VALU_DEP_1)
	v_fmac_f16_e32 v3, 0x34f2, v16
	v_add_f16_e32 v16, v13, v3
	v_sub_f16_e32 v2, v13, v3
	v_sub_f16_e32 v3, v38, v32
	s_delay_alu instid0(VALU_DEP_3) | instskip(NEXT) | instid1(VALU_DEP_3)
	v_pack_b32_f16 v16, v16, v18
	v_pack_b32_f16 v2, v2, v5
	s_delay_alu instid0(VALU_DEP_3)
	v_pack_b32_f16 v0, v0, v3
	v_add_f16_e32 v18, v4, v10
	ds_store_2addr_b32 v232, v0, v2 offset0:18 offset1:21
	v_sub_f16_e32 v0, v1, v8
	v_sub_f16_e32 v1, v4, v10
	v_sub_f16_e32 v2, v36, v9
	v_pack_b32_f16 v18, v22, v18
	v_lshrrev_b32_e32 v9, 16, v112
	s_delay_alu instid0(VALU_DEP_4) | instskip(NEXT) | instid1(VALU_DEP_4)
	v_pack_b32_f16 v1, v21, v1
	v_pack_b32_f16 v0, v0, v2
	ds_store_2addr_b32 v232, v16, v18 offset0:6 offset1:9
	ds_store_2addr_b32 v232, v1, v0 offset0:24 offset1:27
	s_waitcnt lgkmcnt(0)
	s_barrier
	buffer_gl0_inv
	ds_load_2addr_b32 v[24:25], v255 offset0:52 offset1:142
	s_waitcnt lgkmcnt(0)
	v_lshrrev_b32_e32 v0, 16, v25
	v_mul_f16_e64 v1, v138, v25
	s_delay_alu instid0(VALU_DEP_2) | instskip(NEXT) | instid1(VALU_DEP_2)
	v_mul_f16_e64 v30, v138, v0
	v_fma_f16 v31, v79, v0, -v1
	ds_load_2addr_b32 v[0:1], v242 offset0:28 offset1:118
	v_fmac_f16_e32 v30, v79, v25
	s_waitcnt lgkmcnt(0)
	v_lshrrev_b32_e32 v2, 16, v0
	v_mul_f16_e32 v3, v117, v0
	s_delay_alu instid0(VALU_DEP_2) | instskip(NEXT) | instid1(VALU_DEP_2)
	v_mul_f16_e32 v42, v117, v2
	v_fma_f16 v40, v80, v2, -v3
	ds_load_2addr_b32 v[2:3], v162 offset0:80 offset1:170
	v_fmac_f16_e32 v42, v80, v0
	s_waitcnt lgkmcnt(0)
	v_lshrrev_b32_e32 v4, 16, v3
	v_mul_f16_e64 v5, v205, v3
	s_delay_alu instid0(VALU_DEP_2) | instskip(NEXT) | instid1(VALU_DEP_2)
	v_mul_f16_e64 v38, v205, v4
	v_fma_f16 v34, v81, v4, -v5
	ds_load_2addr_b32 v[4:5], v128 offset0:56 offset1:146
	v_fmac_f16_e32 v38, v81, v3
	v_lshrrev_b32_e32 v3, 16, v1
	s_delay_alu instid0(VALU_DEP_2) | instskip(NEXT) | instid1(VALU_DEP_2)
	v_add_f16_e32 v81, v30, v38
	v_mul_f16_e64 v25, v224, v3
	s_delay_alu instid0(VALU_DEP_1) | instskip(SKIP_3) | instid1(VALU_DEP_2)
	v_fmac_f16_e32 v25, v113, v1
	s_waitcnt lgkmcnt(0)
	v_lshrrev_b32_e32 v6, 16, v4
	v_mul_f16_e32 v7, v104, v4
	v_mul_f16_e32 v44, v104, v6
	s_delay_alu instid0(VALU_DEP_2) | instskip(SKIP_1) | instid1(VALU_DEP_3)
	v_fma_f16 v43, v82, v6, -v7
	v_lshrrev_b32_e32 v6, 16, v5
	v_fmac_f16_e32 v44, v82, v4
	v_mul_f16_e64 v4, v224, v1
	ds_load_2addr_b32 v[0:1], v135 offset0:104 offset1:194
	v_mul_f16_e64 v27, v202, v6
	v_add_f16_e32 v82, v31, v34
	v_fma_f16 v28, v113, v3, -v4
	ds_load_2addr_b32 v[3:4], v251 offset0:132 offset1:222
	v_fmac_f16_e32 v27, v115, v5
	v_mul_f16_e64 v5, v202, v5
	s_delay_alu instid0(VALU_DEP_1)
	v_fma_f16 v29, v115, v6, -v5
	v_lshrrev_b32_e32 v5, 16, v238
	v_lshrrev_b32_e32 v6, 16, v239
	s_waitcnt lgkmcnt(1)
	v_lshrrev_b32_e32 v7, 16, v0
	v_mul_f16_e32 v8, v9, v0
	s_delay_alu instid0(VALU_DEP_2) | instskip(NEXT) | instid1(VALU_DEP_2)
	v_mul_f16_e32 v21, v9, v7
	v_fma_f16 v22, v112, v7, -v8
	s_waitcnt lgkmcnt(0)
	v_lshrrev_b32_e32 v7, 16, v3
	v_lshrrev_b32_e32 v9, 16, v114
	v_fmac_f16_e32 v21, v112, v0
	v_lshrrev_b32_e32 v0, 16, v1
	s_delay_alu instid0(VALU_DEP_3) | instskip(SKIP_2) | instid1(VALU_DEP_3)
	v_mul_f16_e32 v26, v9, v7
	v_mul_f16_e32 v8, v9, v3
	v_lshrrev_b32_e32 v9, 16, v157
	v_fmac_f16_e32 v26, v114, v3
	v_lshrrev_b32_e32 v3, 16, v237
	s_delay_alu instid0(VALU_DEP_4) | instskip(NEXT) | instid1(VALU_DEP_2)
	v_fma_f16 v23, v114, v7, -v8
	v_mul_f16_e32 v16, v3, v0
	s_delay_alu instid0(VALU_DEP_1) | instskip(SKIP_2) | instid1(VALU_DEP_1)
	v_fmac_f16_e64 v16, v237, v1
	v_mul_f16_e32 v1, v3, v1
	v_lshrrev_b32_e32 v3, 16, v2
	v_mul_f16_e32 v18, v5, v3
	s_delay_alu instid0(VALU_DEP_1) | instskip(SKIP_2) | instid1(VALU_DEP_2)
	v_fmac_f16_e64 v18, v238, v2
	v_mul_f16_e32 v2, v5, v2
	v_lshrrev_b32_e32 v5, 16, v4
	v_fma_f16 v19, v238, v3, -v2
	s_delay_alu instid0(VALU_DEP_2) | instskip(SKIP_1) | instid1(VALU_DEP_2)
	v_mul_f16_e32 v17, v6, v5
	v_mul_f16_e32 v6, v6, v4
	v_fmac_f16_e64 v17, v239, v4
	v_fma_f16 v4, v237, v0, -v1
	ds_load_2addr_b32 v[0:1], v98 offset0:108 offset1:198
	v_fma_f16 v5, v239, v5, -v6
	v_lshrrev_b32_e32 v6, 16, v240
	s_waitcnt lgkmcnt(0)
	v_lshrrev_b32_e32 v2, 16, v0
	s_delay_alu instid0(VALU_DEP_2) | instskip(NEXT) | instid1(VALU_DEP_2)
	v_mul_f16_e32 v3, v6, v0
	v_mul_f16_e32 v20, v6, v2
	s_delay_alu instid0(VALU_DEP_2) | instskip(SKIP_1) | instid1(VALU_DEP_3)
	v_fma_f16 v6, v240, v2, -v3
	v_lshrrev_b32_e32 v2, 16, v155
	v_fmac_f16_e64 v20, v240, v0
	v_lshrrev_b32_e32 v0, 16, v1
	s_delay_alu instid0(VALU_DEP_1) | instskip(SKIP_1) | instid1(VALU_DEP_2)
	v_mul_f16_e32 v47, v2, v0
	v_mul_f16_e32 v2, v2, v1
	v_fmac_f16_e64 v47, v155, v1
	s_delay_alu instid0(VALU_DEP_2)
	v_fma_f16 v45, v155, v0, -v2
	ds_load_2addr_b32 v[0:1], v176 offset0:84 offset1:174
	v_add_f16_e32 v81, v81, v47
	v_add_f16_e32 v82, v82, v45
	s_waitcnt lgkmcnt(0)
	v_lshrrev_b32_e32 v2, 16, v0
	v_mul_f16_e32 v3, v107, v0
	s_delay_alu instid0(VALU_DEP_2) | instskip(NEXT) | instid1(VALU_DEP_2)
	v_mul_f16_e32 v50, v107, v2
	v_fma_f16 v49, v156, v2, -v3
	ds_load_2addr_b32 v[2:3], v163 offset0:8 offset1:98
	v_fmac_f16_e64 v50, v156, v0
	v_lshrrev_b32_e32 v0, 16, v152
	v_sub_f16_e32 v104, v43, v49
	s_delay_alu instid0(VALU_DEP_3) | instskip(SKIP_3) | instid1(VALU_DEP_2)
	v_sub_f16_e32 v114, v44, v50
	s_waitcnt lgkmcnt(0)
	v_lshrrev_b32_e32 v7, 16, v3
	v_mul_f16_e32 v8, v9, v3
	v_mul_f16_e32 v48, v9, v7
	s_delay_alu instid0(VALU_DEP_2)
	v_fma_f16 v46, v157, v7, -v8
	ds_load_2addr_b32 v[7:8], v185 offset0:112 offset1:202
	v_fmac_f16_e64 v48, v157, v3
	v_lshrrev_b32_e32 v3, 16, v1
	v_sub_f16_e32 v103, v45, v46
	v_add_f16_e32 v82, v82, v46
	s_delay_alu instid0(VALU_DEP_4) | instskip(NEXT) | instid1(VALU_DEP_4)
	v_sub_f16_e32 v102, v47, v48
	v_mul_f16_e32 v36, v0, v3
	v_add_f16_e32 v81, v81, v48
	s_delay_alu instid0(VALU_DEP_2) | instskip(SKIP_3) | instid1(VALU_DEP_2)
	v_fmac_f16_e64 v36, v152, v1
	s_waitcnt lgkmcnt(0)
	v_lshrrev_b32_e32 v9, 16, v7
	v_mul_f16_e32 v10, v94, v7
	v_mul_f16_e32 v92, v94, v9
	s_delay_alu instid0(VALU_DEP_2) | instskip(SKIP_2) | instid1(VALU_DEP_4)
	v_fma_f16 v91, v158, v9, -v10
	v_lshrrev_b32_e32 v9, 16, v8
	v_mul_f16_e32 v10, v105, v8
	v_fmac_f16_e64 v92, v158, v7
	v_mul_f16_e32 v7, v0, v1
	ds_load_2addr_b32 v[0:1], v119 offset0:160 offset1:250
	v_mul_f16_e32 v39, v105, v9
	v_fma_f16 v15, v154, v9, -v10
	v_lshrrev_b32_e32 v9, 16, v197
	v_fma_f16 v41, v152, v3, -v7
	v_sub_f16_e32 v94, v40, v91
	v_fmac_f16_e64 v39, v154, v8
	v_sub_f16_e32 v107, v42, v92
	s_waitcnt lgkmcnt(0)
	v_lshrrev_b32_e32 v8, 16, v0
	v_mul_f16_e32 v11, v12, v0
	s_delay_alu instid0(VALU_DEP_2) | instskip(NEXT) | instid1(VALU_DEP_2)
	v_mul_f16_e32 v35, v12, v8
	v_fma_f16 v32, v151, v8, -v11
	ds_load_2addr_b32 v[7:8], v241 offset0:60 offset1:150
	v_lshrrev_b32_e32 v12, 16, v153
	v_fmac_f16_e64 v35, v151, v0
	v_lshrrev_b32_e32 v0, 16, v1
	s_waitcnt lgkmcnt(0)
	v_lshrrev_b32_e32 v3, 16, v7
	v_mul_f16_e32 v11, v12, v7
	s_delay_alu instid0(VALU_DEP_2) | instskip(NEXT) | instid1(VALU_DEP_2)
	v_mul_f16_e32 v37, v12, v3
	v_fma_f16 v33, v153, v3, -v11
	v_lshrrev_b32_e32 v3, 16, v196
	v_lshrrev_b32_e32 v12, 16, v8
	;; [unrolled: 1-line block ×3, first 2 shown]
	v_fmac_f16_e64 v37, v153, v7
	s_delay_alu instid0(VALU_DEP_4) | instskip(NEXT) | instid1(VALU_DEP_3)
	v_mul_f16_e32 v7, v3, v0
	v_mul_f16_e32 v13, v11, v8
	s_delay_alu instid0(VALU_DEP_2) | instskip(SKIP_2) | instid1(VALU_DEP_1)
	v_fmac_f16_e64 v7, v196, v1
	v_mul_f16_e32 v1, v3, v1
	v_lshrrev_b32_e32 v3, 16, v2
	v_mul_f16_e32 v10, v9, v3
	s_delay_alu instid0(VALU_DEP_1) | instskip(SKIP_2) | instid1(VALU_DEP_2)
	v_fmac_f16_e64 v10, v197, v2
	v_mul_f16_e32 v2, v9, v2
	v_mul_f16_e32 v9, v11, v12
	v_fma_f16 v11, v197, v3, -v2
	s_delay_alu instid0(VALU_DEP_2)
	v_fmac_f16_e64 v9, v198, v8
	v_fma_f16 v8, v196, v0, -v1
	ds_load_2addr_b32 v[0:1], v178 offset0:36 offset1:126
	v_fma_f16 v2, v198, v12, -v13
	v_lshrrev_b32_e32 v13, 16, v199
	s_waitcnt lgkmcnt(0)
	v_lshrrev_b32_e32 v3, 16, v0
	s_delay_alu instid0(VALU_DEP_2) | instskip(NEXT) | instid1(VALU_DEP_2)
	v_mul_f16_e32 v12, v13, v0
	v_mul_f16_e32 v13, v13, v3
	s_delay_alu instid0(VALU_DEP_2) | instskip(SKIP_1) | instid1(VALU_DEP_3)
	v_fma_f16 v12, v199, v3, -v12
	v_lshrrev_b32_e32 v3, 16, v215
	v_fmac_f16_e64 v13, v199, v0
	v_lshrrev_b32_e32 v0, 16, v1
	s_delay_alu instid0(VALU_DEP_1) | instskip(SKIP_1) | instid1(VALU_DEP_2)
	v_mul_f16_e32 v93, v3, v0
	v_mul_f16_e32 v3, v3, v1
	v_fmac_f16_e64 v93, v215, v1
	s_delay_alu instid0(VALU_DEP_2) | instskip(SKIP_2) | instid1(VALU_DEP_4)
	v_fma_f16 v14, v215, v0, -v3
	v_sub_f16_e32 v0, v42, v44
	v_sub_f16_e32 v1, v92, v50
	;; [unrolled: 1-line block ×3, first 2 shown]
	s_delay_alu instid0(VALU_DEP_4) | instskip(SKIP_1) | instid1(VALU_DEP_4)
	v_sub_f16_e32 v109, v34, v14
	v_add_f16_e32 v106, v81, v93
	v_add_f16_e32 v3, v0, v1
	v_sub_f16_e32 v0, v40, v43
	v_sub_f16_e32 v1, v91, v49
	v_add_f16_e32 v122, v82, v14
	s_delay_alu instid0(VALU_DEP_2) | instskip(SKIP_2) | instid1(VALU_DEP_1)
	v_add_f16_e32 v96, v0, v1
	v_sub_f16_e32 v0, v38, v47
	v_sub_f16_e32 v1, v93, v48
	v_add_f16_e32 v97, v0, v1
	v_sub_f16_e32 v0, v34, v45
	v_sub_f16_e32 v1, v14, v46
	s_delay_alu instid0(VALU_DEP_1) | instskip(SKIP_1) | instid1(VALU_DEP_1)
	v_add_f16_e32 v101, v0, v1
	v_add_f16_e32 v0, v47, v48
	v_fma_f16 v99, -0.5, v0, v30
	v_add_f16_e32 v0, v45, v46
	s_delay_alu instid0(VALU_DEP_2) | instskip(NEXT) | instid1(VALU_DEP_2)
	v_fmamk_f16 v1, v109, 0xbb9c, v99
	v_fma_f16 v100, -0.5, v0, v31
	v_fmac_f16_e32 v99, 0x3b9c, v109
	s_delay_alu instid0(VALU_DEP_3) | instskip(NEXT) | instid1(VALU_DEP_3)
	v_fmac_f16_e32 v1, 0xb8b4, v103
	v_fmamk_f16 v0, v108, 0x3b9c, v100
	v_fmac_f16_e32 v100, 0xbb9c, v108
	s_delay_alu instid0(VALU_DEP_4) | instskip(NEXT) | instid1(VALU_DEP_4)
	v_fmac_f16_e32 v99, 0x38b4, v103
	v_fmac_f16_e32 v1, 0x34f2, v97
	s_delay_alu instid0(VALU_DEP_4) | instskip(NEXT) | instid1(VALU_DEP_4)
	v_fmac_f16_e32 v0, 0x38b4, v102
	v_fmac_f16_e32 v100, 0xb8b4, v102
	s_delay_alu instid0(VALU_DEP_4) | instskip(SKIP_1) | instid1(VALU_DEP_4)
	v_fmac_f16_e32 v99, 0x34f2, v97
	v_sub_f16_e32 v97, v25, v39
	v_fmac_f16_e32 v0, 0x34f2, v101
	s_delay_alu instid0(VALU_DEP_4) | instskip(NEXT) | instid1(VALU_DEP_2)
	v_fmac_f16_e32 v100, 0x34f2, v101
	v_mul_f16_e32 v110, 0xb8b4, v0
	v_mul_f16_e32 v113, 0x3a79, v0
	s_delay_alu instid0(VALU_DEP_2) | instskip(NEXT) | instid1(VALU_DEP_2)
	v_fmac_f16_e32 v110, 0x3a79, v1
	v_fmac_f16_e32 v113, 0x38b4, v1
	ds_load_2addr_b32 v[0:1], v190 offset1:90
	s_waitcnt lgkmcnt(0)
	v_lshrrev_b32_e32 v111, 16, v0
	v_add_f16_e32 v79, v0, v42
	s_delay_alu instid0(VALU_DEP_2) | instskip(NEXT) | instid1(VALU_DEP_2)
	v_add_f16_e32 v80, v111, v40
	v_add_f16_e32 v79, v79, v44
	s_delay_alu instid0(VALU_DEP_2) | instskip(NEXT) | instid1(VALU_DEP_2)
	v_add_f16_e32 v80, v80, v43
	;; [unrolled: 3-line block ×4, first 2 shown]
	v_add_f16_e32 v79, v118, v106
	s_delay_alu instid0(VALU_DEP_2) | instskip(NEXT) | instid1(VALU_DEP_1)
	v_add_f16_e32 v80, v121, v122
	v_pack_b32_f16 v81, v79, v80
	v_add_f16_e32 v79, v44, v50
	v_sub_f16_e32 v44, v44, v42
	v_add_f16_e32 v42, v42, v92
	v_sub_f16_e32 v50, v50, v92
	v_sub_f16_e32 v92, v28, v15
	v_fma_f16 v82, -0.5, v79, v0
	v_add_f16_e32 v79, v43, v49
	v_sub_f16_e32 v43, v43, v40
	v_add_f16_e32 v40, v40, v91
	v_sub_f16_e32 v49, v49, v91
	v_fma_f16 v0, -0.5, v42, v0
	v_fma_f16 v105, -0.5, v79, v111
	v_add_f16_e32 v44, v44, v50
	v_fmac_f16_e32 v111, -0.5, v40
	v_add_f16_e32 v40, v43, v49
	v_sub_f16_e32 v43, v47, v38
	v_fmamk_f16 v42, v104, 0x3b9c, v0
	v_fmac_f16_e32 v0, 0xbb9c, v104
	v_fmamk_f16 v47, v114, 0xbb9c, v111
	v_fmac_f16_e32 v111, 0x3b9c, v114
	v_add_f16_e32 v38, v38, v93
	v_fmac_f16_e32 v42, 0xb8b4, v94
	v_fmac_f16_e32 v0, 0x38b4, v94
	;; [unrolled: 1-line block ×4, first 2 shown]
	v_fmac_f16_e32 v30, -0.5, v38
	v_fmac_f16_e32 v42, 0x34f2, v44
	v_fmac_f16_e32 v0, 0x34f2, v44
	;; [unrolled: 1-line block ×4, first 2 shown]
	v_add_f16_e32 v40, v34, v14
	v_sub_f16_e32 v34, v45, v34
	v_sub_f16_e32 v14, v46, v14
	;; [unrolled: 1-line block ×3, first 2 shown]
	v_fmamk_f16 v98, v94, 0xbb9c, v82
	v_fmac_f16_e32 v31, -0.5, v40
	v_fmamk_f16 v40, v103, 0x3b9c, v30
	v_add_f16_e32 v14, v34, v14
	v_add_f16_e32 v38, v43, v44
	v_fmac_f16_e32 v30, 0xbb9c, v103
	v_fmamk_f16 v34, v102, 0xbb9c, v31
	v_fmac_f16_e32 v31, 0x3b9c, v102
	v_fmac_f16_e32 v40, 0xb8b4, v109
	v_fmamk_f16 v112, v107, 0x3b9c, v105
	v_fmac_f16_e32 v30, 0x38b4, v109
	v_fmac_f16_e32 v34, 0x38b4, v108
	;; [unrolled: 1-line block ×11, first 2 shown]
	v_mul_f16_e32 v14, 0xbb9c, v34
	v_mul_f16_e32 v34, 0x34f2, v34
	;; [unrolled: 1-line block ×4, first 2 shown]
	v_fmac_f16_e32 v112, 0x34f2, v96
	v_fmac_f16_e32 v14, 0x34f2, v40
	;; [unrolled: 1-line block ×5, first 2 shown]
	v_add_f16_e32 v79, v98, v110
	v_add_f16_e32 v30, v42, v14
	;; [unrolled: 1-line block ×5, first 2 shown]
	v_fmac_f16_e32 v105, 0xbb9c, v107
	v_fmac_f16_e32 v82, 0x38b4, v104
	v_pack_b32_f16 v30, v30, v40
	v_add_f16_e32 v40, v0, v38
	v_pack_b32_f16 v115, v79, v80
	ds_load_2addr_b32 v[79:80], v167 offset0:88 offset1:178
	s_waitcnt lgkmcnt(0)
	s_barrier
	v_pack_b32_f16 v40, v40, v43
	buffer_gl0_inv
	v_fmac_f16_e32 v105, 0xb8b4, v114
	v_fmac_f16_e32 v82, 0x34f2, v3
	v_mul_f16_e32 v3, 0xb8b4, v100
	ds_store_2addr_b32 v181, v30, v40 offset0:60 offset1:90
	v_mul_f16_e32 v30, 0xba79, v100
	v_fmac_f16_e32 v105, 0x34f2, v96
	v_sub_f16_e32 v40, v118, v106
	v_fmac_f16_e32 v3, 0xba79, v99
	v_sub_f16_e32 v43, v121, v122
	;; [unrolled: 2-line block ×3, first 2 shown]
	v_sub_f16_e32 v42, v112, v113
	v_add_f16_e32 v44, v82, v3
	v_pack_b32_f16 v40, v40, v43
	v_add_f16_e32 v45, v105, v30
	v_sub_f16_e32 v34, v47, v34
	v_sub_f16_e32 v0, v0, v38
	;; [unrolled: 1-line block ×4, first 2 shown]
	v_pack_b32_f16 v44, v44, v45
	v_pack_b32_f16 v14, v14, v34
	v_sub_f16_e32 v47, v32, v33
	v_lshrrev_b32_e32 v49, 16, v1
	v_pack_b32_f16 v3, v3, v30
	ds_store_2addr_b32 v181, v44, v40 offset0:120 offset1:150
	v_sub_f16_e32 v40, v98, v110
	v_sub_f16_e32 v30, v39, v36
	;; [unrolled: 1-line block ×3, first 2 shown]
	ds_store_2addr_b32 v181, v81, v115 offset1:30
	v_add_f16_e32 v50, v49, v28
	v_pack_b32_f16 v40, v40, v42
	v_add_f16_e32 v81, v22, v23
	v_sub_f16_e32 v99, v27, v36
	v_sub_f16_e32 v94, v29, v41
	v_add_f16_e32 v50, v50, v29
	ds_store_2addr_b32 v181, v40, v14 offset0:180 offset1:210
	v_sub_f16_e32 v14, v111, v31
	v_sub_f16_e32 v31, v15, v41
	v_add_f16_e32 v40, v32, v33
	v_add_f16_e32 v81, v81, v32
	;; [unrolled: 1-line block ×3, first 2 shown]
	v_pack_b32_f16 v0, v0, v14
	scratch_load_b32 v14, off, off offset:268 ; 4-byte Folded Reload
	v_fma_f16 v40, -0.5, v40, v22
	v_add_f16_e32 v81, v81, v33
	v_add_f16_e32 v50, v50, v15
	;; [unrolled: 1-line block ×3, first 2 shown]
	s_delay_alu instid0(VALU_DEP_1) | instskip(NEXT) | instid1(VALU_DEP_1)
	v_fma_f16 v96, -0.5, v96, v49
	v_fmamk_f16 v98, v97, 0x3b9c, v96
	v_fmac_f16_e32 v96, 0xbb9c, v97
	s_delay_alu instid0(VALU_DEP_2) | instskip(NEXT) | instid1(VALU_DEP_2)
	v_fmac_f16_e32 v98, 0x38b4, v99
	v_fmac_f16_e32 v96, 0xb8b4, v99
	s_waitcnt vmcnt(0)
	ds_store_2addr_b32 v14, v0, v3 offset0:112 offset1:142
	v_lshrrev_b32_e32 v14, 16, v177
	v_lshrrev_b32_e32 v0, 16, v79
	s_delay_alu instid0(VALU_DEP_2) | instskip(NEXT) | instid1(VALU_DEP_2)
	v_mul_f16_e32 v3, v14, v79
	v_mul_f16_e32 v14, v14, v0
	s_delay_alu instid0(VALU_DEP_2) | instskip(SKIP_1) | instid1(VALU_DEP_3)
	v_fma_f16 v0, v177, v0, -v3
	v_sub_f16_e32 v3, v25, v27
	v_fmac_f16_e64 v14, v177, v79
	v_add_f16_e32 v79, v21, v26
	s_delay_alu instid0(VALU_DEP_4) | instskip(NEXT) | instid1(VALU_DEP_4)
	v_sub_f16_e32 v38, v0, v33
	v_add_f16_e32 v3, v3, v30
	v_sub_f16_e32 v30, v28, v29
	v_sub_f16_e32 v34, v14, v37
	;; [unrolled: 1-line block ×4, first 2 shown]
	v_add_f16_e32 v79, v79, v35
	v_add_f16_e32 v30, v30, v31
	v_sub_f16_e32 v31, v26, v35
	v_fmamk_f16 v43, v42, 0x3b9c, v40
	v_add_f16_e32 v81, v81, v0
	v_add_f16_e32 v79, v79, v37
	v_fmac_f16_e32 v40, 0xbb9c, v42
	v_add_f16_e32 v31, v31, v34
	v_sub_f16_e32 v34, v23, v32
	v_fmac_f16_e32 v43, 0x38b4, v44
	v_add_f16_e32 v79, v79, v14
	v_add_f16_e32 v91, v50, v81
	v_fmac_f16_e32 v40, 0xb8b4, v44
	v_add_f16_e32 v34, v34, v38
	v_add_f16_e32 v38, v35, v37
	v_fmac_f16_e32 v96, 0x34f2, v30
	v_fmac_f16_e32 v98, 0x34f2, v30
	v_sub_f16_e32 v30, v8, v2
	v_fmac_f16_e32 v43, 0x34f2, v34
	v_fma_f16 v38, -0.5, v38, v21
	v_fmac_f16_e32 v40, 0x34f2, v34
	v_add_f16_e32 v34, v16, v17
	s_delay_alu instid0(VALU_DEP_4) | instskip(NEXT) | instid1(VALU_DEP_4)
	v_mul_f16_e32 v48, 0xb8b4, v43
	v_fmamk_f16 v46, v45, 0xbb9c, v38
	v_mul_f16_e32 v43, 0x3a79, v43
	v_fmac_f16_e32 v38, 0x3b9c, v45
	v_add_f16_e32 v34, v34, v7
	s_delay_alu instid0(VALU_DEP_4) | instskip(NEXT) | instid1(VALU_DEP_3)
	v_fmac_f16_e32 v46, 0xb8b4, v47
	v_fmac_f16_e32 v38, 0x38b4, v47
	s_delay_alu instid0(VALU_DEP_3) | instskip(NEXT) | instid1(VALU_DEP_3)
	v_add_f16_e32 v34, v34, v9
	v_fmac_f16_e32 v46, 0x34f2, v31
	s_delay_alu instid0(VALU_DEP_3) | instskip(NEXT) | instid1(VALU_DEP_2)
	v_fmac_f16_e32 v38, 0x34f2, v31
	v_fmac_f16_e32 v48, 0x3a79, v46
	;; [unrolled: 1-line block ×3, first 2 shown]
	v_add_f16_e32 v46, v1, v25
	s_delay_alu instid0(VALU_DEP_2) | instskip(NEXT) | instid1(VALU_DEP_2)
	v_add_f16_e32 v101, v98, v43
	v_add_f16_e32 v46, v46, v27
	s_delay_alu instid0(VALU_DEP_1) | instskip(NEXT) | instid1(VALU_DEP_1)
	v_add_f16_e32 v46, v46, v36
	v_add_f16_e32 v46, v46, v39
	s_delay_alu instid0(VALU_DEP_1) | instskip(NEXT) | instid1(VALU_DEP_1)
	v_add_f16_e32 v82, v46, v79
	v_pack_b32_f16 v82, v82, v91
	v_add_f16_e32 v91, v27, v36
	v_sub_f16_e32 v27, v27, v25
	v_add_f16_e32 v25, v25, v39
	v_sub_f16_e32 v36, v36, v39
	s_delay_alu instid0(VALU_DEP_4) | instskip(NEXT) | instid1(VALU_DEP_3)
	v_fma_f16 v91, -0.5, v91, v1
	v_fmac_f16_e32 v1, -0.5, v25
	s_delay_alu instid0(VALU_DEP_3)
	v_add_f16_e32 v25, v27, v36
	v_sub_f16_e32 v27, v29, v28
	v_add_f16_e32 v28, v28, v15
	v_sub_f16_e32 v15, v41, v15
	v_fmamk_f16 v29, v94, 0x3b9c, v1
	v_fmac_f16_e32 v1, 0xbb9c, v94
	v_fmamk_f16 v93, v92, 0xbb9c, v91
	v_fmac_f16_e32 v49, -0.5, v28
	v_add_f16_e32 v15, v27, v15
	v_fmac_f16_e32 v29, 0xb8b4, v92
	v_fmac_f16_e32 v1, 0x38b4, v92
	;; [unrolled: 1-line block ×3, first 2 shown]
	v_fmamk_f16 v27, v99, 0xbb9c, v49
	v_fmac_f16_e32 v49, 0x3b9c, v99
	v_fmac_f16_e32 v29, 0x34f2, v25
	v_fmac_f16_e32 v1, 0x34f2, v25
	v_sub_f16_e32 v25, v35, v26
	v_add_f16_e32 v26, v26, v14
	v_fmac_f16_e32 v27, 0x38b4, v97
	v_fmac_f16_e32 v49, 0xb8b4, v97
	v_sub_f16_e32 v14, v37, v14
	v_fmac_f16_e32 v93, 0xb8b4, v94
	v_fmac_f16_e32 v21, -0.5, v26
	v_fmac_f16_e32 v27, 0x34f2, v15
	v_fmac_f16_e32 v49, 0x34f2, v15
	v_add_f16_e32 v15, v23, v0
	v_add_f16_e32 v14, v25, v14
	v_sub_f16_e32 v0, v33, v0
	v_fmac_f16_e32 v91, 0x38b4, v94
	v_fmac_f16_e32 v93, 0x34f2, v3
	v_fmac_f16_e32 v22, -0.5, v15
	v_sub_f16_e32 v15, v32, v23
	v_fmamk_f16 v23, v47, 0x3b9c, v21
	v_fmac_f16_e32 v21, 0xbb9c, v47
	v_fmac_f16_e32 v91, 0x34f2, v3
	v_mul_f16_e32 v3, 0xb8b4, v40
	v_add_f16_e32 v0, v15, v0
	v_fmac_f16_e32 v23, 0xb8b4, v45
	v_fmac_f16_e32 v21, 0x38b4, v45
	v_lshrrev_b32_e32 v32, 16, v24
	v_fmac_f16_e32 v3, 0xba79, v38
	v_add_f16_e32 v35, v4, v5
	v_fmac_f16_e32 v23, 0x34f2, v14
	v_fmac_f16_e32 v21, 0x34f2, v14
	v_fmamk_f16 v14, v44, 0xbb9c, v22
	v_fmac_f16_e32 v22, 0x3b9c, v44
	v_add_f16_e32 v26, v91, v3
	v_add_f16_e32 v33, v32, v19
	;; [unrolled: 1-line block ×3, first 2 shown]
	v_fmac_f16_e32 v14, 0x38b4, v42
	v_fmac_f16_e32 v22, 0xb8b4, v42
	v_sub_f16_e32 v42, v18, v13
	v_add_f16_e32 v33, v33, v6
	v_add_f16_e32 v35, v35, v2
	v_fmac_f16_e32 v14, 0x34f2, v0
	v_fmac_f16_e32 v22, 0x34f2, v0
	v_sub_f16_e32 v44, v20, v10
	v_add_f16_e32 v33, v33, v11
	v_add_f16_e32 v41, v6, v11
	v_mul_f16_e32 v0, 0xbb9c, v14
	v_mul_f16_e32 v14, 0x34f2, v14
	;; [unrolled: 1-line block ×4, first 2 shown]
	v_add_f16_e32 v33, v33, v12
	v_fmac_f16_e32 v0, 0x34f2, v23
	v_fmac_f16_e32 v14, 0x3b9c, v23
	;; [unrolled: 1-line block ×4, first 2 shown]
	v_fma_f16 v41, -0.5, v41, v32
	v_add_f16_e32 v21, v29, v0
	v_add_f16_e32 v23, v27, v14
	v_sub_f16_e32 v0, v29, v0
	v_add_f16_e32 v25, v49, v22
	v_sub_f16_e32 v14, v27, v14
	v_sub_f16_e32 v27, v7, v9
	v_pack_b32_f16 v21, v21, v23
	v_add_f16_e32 v23, v1, v15
	v_add_f16_e32 v100, v93, v48
	v_pack_b32_f16 v0, v0, v14
	s_delay_alu instid0(VALU_DEP_3) | instskip(SKIP_1) | instid1(VALU_DEP_4)
	v_pack_b32_f16 v23, v23, v25
	v_sub_f16_e32 v25, v50, v81
	v_pack_b32_f16 v100, v100, v101
	ds_store_2addr_b32 v180, v21, v23 offset0:60 offset1:90
	v_mul_f16_e32 v21, 0xba79, v40
	v_sub_f16_e32 v23, v46, v79
	v_sub_f16_e32 v40, v6, v11
	ds_store_2addr_b32 v180, v82, v100 offset1:30
	v_fmac_f16_e32 v21, 0x38b4, v38
	v_pack_b32_f16 v23, v23, v25
	v_sub_f16_e32 v25, v98, v43
	v_sub_f16_e32 v38, v19, v12
	v_fmamk_f16 v43, v42, 0x3b9c, v41
	v_add_f16_e32 v28, v96, v21
	v_sub_f16_e32 v14, v96, v21
	v_fmac_f16_e32 v41, 0xbb9c, v42
	s_delay_alu instid0(VALU_DEP_4) | instskip(NEXT) | instid1(VALU_DEP_4)
	v_fmac_f16_e32 v43, 0x38b4, v44
	v_pack_b32_f16 v26, v26, v28
	s_delay_alu instid0(VALU_DEP_3) | instskip(SKIP_2) | instid1(VALU_DEP_1)
	v_fmac_f16_e32 v41, 0xb8b4, v44
	ds_store_2addr_b32 v180, v26, v23 offset0:120 offset1:150
	v_sub_f16_e32 v23, v93, v48
	v_pack_b32_f16 v23, v23, v25
	ds_store_2addr_b32 v180, v23, v0 offset0:180 offset1:210
	v_sub_f16_e32 v0, v1, v15
	v_sub_f16_e32 v1, v91, v3
	;; [unrolled: 1-line block ×4, first 2 shown]
	v_add_f16_e32 v23, v8, v2
	v_sub_f16_e32 v11, v11, v12
	v_pack_b32_f16 v1, v1, v14
	v_pack_b32_f16 v0, v0, v3
	scratch_load_b32 v3, off, off offset:264 ; 4-byte Folded Reload
	v_sub_f16_e32 v14, v13, v10
	v_fma_f16 v23, -0.5, v23, v4
	s_waitcnt vmcnt(0)
	ds_store_2addr_b32 v3, v0, v1 offset0:112 offset1:142
	v_lshrrev_b32_e32 v0, 16, v80
	v_lshrrev_b32_e32 v3, 16, v175
	s_delay_alu instid0(VALU_DEP_1) | instskip(SKIP_1) | instid1(VALU_DEP_2)
	v_mul_f16_e32 v1, v3, v0
	v_mul_f16_e32 v3, v3, v80
	v_fmac_f16_e64 v1, v175, v80
	s_delay_alu instid0(VALU_DEP_2) | instskip(SKIP_1) | instid1(VALU_DEP_3)
	v_fma_f16 v0, v175, v0, -v3
	v_sub_f16_e32 v3, v18, v20
	v_sub_f16_e32 v21, v1, v9
	s_delay_alu instid0(VALU_DEP_3) | instskip(NEXT) | instid1(VALU_DEP_3)
	v_sub_f16_e32 v22, v0, v2
	v_add_f16_e32 v3, v3, v14
	v_sub_f16_e32 v14, v19, v6
	v_sub_f16_e32 v25, v17, v1
	;; [unrolled: 1-line block ×3, first 2 shown]
	v_add_f16_e32 v34, v34, v1
	v_add_f16_e32 v35, v35, v0
	;; [unrolled: 1-line block ×3, first 2 shown]
	v_sub_f16_e32 v15, v17, v7
	v_fmamk_f16 v26, v25, 0x3b9c, v23
	v_sub_f16_e32 v6, v6, v19
	v_add_f16_e32 v37, v33, v35
	v_fmac_f16_e32 v23, 0xbb9c, v25
	v_add_f16_e32 v15, v15, v21
	v_sub_f16_e32 v21, v5, v8
	v_fmac_f16_e32 v26, 0x38b4, v27
	v_add_f16_e32 v6, v6, v11
	v_fmac_f16_e32 v23, 0xb8b4, v27
	v_fmac_f16_e32 v41, 0x34f2, v14
	v_add_f16_e32 v21, v21, v22
	v_add_f16_e32 v22, v7, v9
	v_sub_f16_e32 v7, v7, v17
	v_fmac_f16_e32 v43, 0x34f2, v14
	s_delay_alu instid0(VALU_DEP_4) | instskip(NEXT) | instid1(VALU_DEP_4)
	v_fmac_f16_e32 v26, 0x34f2, v21
	v_fma_f16 v22, -0.5, v22, v16
	v_fmac_f16_e32 v23, 0x34f2, v21
	s_delay_alu instid0(VALU_DEP_3) | instskip(NEXT) | instid1(VALU_DEP_3)
	v_mul_f16_e32 v31, 0xb8b4, v26
	v_fmamk_f16 v29, v28, 0xbb9c, v22
	v_mul_f16_e32 v26, 0x3a79, v26
	v_fmac_f16_e32 v22, 0x3b9c, v28
	s_delay_alu instid0(VALU_DEP_3) | instskip(NEXT) | instid1(VALU_DEP_2)
	v_fmac_f16_e32 v29, 0xb8b4, v30
	v_fmac_f16_e32 v22, 0x38b4, v30
	s_delay_alu instid0(VALU_DEP_2) | instskip(NEXT) | instid1(VALU_DEP_2)
	v_fmac_f16_e32 v29, 0x34f2, v15
	v_fmac_f16_e32 v22, 0x34f2, v15
	s_delay_alu instid0(VALU_DEP_2) | instskip(SKIP_2) | instid1(VALU_DEP_2)
	v_fmac_f16_e32 v31, 0x3a79, v29
	v_fmac_f16_e32 v26, 0x38b4, v29
	v_add_f16_e32 v29, v24, v18
	v_add_f16_e32 v46, v43, v26
	s_delay_alu instid0(VALU_DEP_2) | instskip(NEXT) | instid1(VALU_DEP_1)
	v_add_f16_e32 v29, v29, v20
	v_add_f16_e32 v29, v29, v10
	s_delay_alu instid0(VALU_DEP_1) | instskip(NEXT) | instid1(VALU_DEP_1)
	v_add_f16_e32 v29, v29, v13
	v_add_f16_e32 v36, v29, v34
	s_delay_alu instid0(VALU_DEP_1)
	v_pack_b32_f16 v36, v36, v37
	v_add_f16_e32 v37, v20, v10
	v_sub_f16_e32 v20, v20, v18
	v_add_f16_e32 v18, v18, v13
	v_sub_f16_e32 v10, v10, v13
	v_add_f16_e32 v13, v19, v12
	v_fma_f16 v37, -0.5, v37, v24
	s_delay_alu instid0(VALU_DEP_4) | instskip(NEXT) | instid1(VALU_DEP_4)
	v_fmac_f16_e32 v24, -0.5, v18
	v_add_f16_e32 v10, v20, v10
	s_delay_alu instid0(VALU_DEP_4) | instskip(NEXT) | instid1(VALU_DEP_4)
	v_fmac_f16_e32 v32, -0.5, v13
	v_fmamk_f16 v39, v38, 0xbb9c, v37
	v_fmac_f16_e32 v37, 0x3b9c, v38
	v_fmamk_f16 v12, v40, 0x3b9c, v24
	v_fmac_f16_e32 v24, 0xbb9c, v40
	s_delay_alu instid0(VALU_DEP_4) | instskip(NEXT) | instid1(VALU_DEP_4)
	v_fmac_f16_e32 v39, 0xb8b4, v40
	v_fmac_f16_e32 v37, 0x38b4, v40
	s_delay_alu instid0(VALU_DEP_4) | instskip(NEXT) | instid1(VALU_DEP_4)
	v_fmac_f16_e32 v12, 0xb8b4, v38
	;; [unrolled: 3-line block ×4, first 2 shown]
	v_fmac_f16_e32 v24, 0x34f2, v10
	v_add_f16_e32 v10, v17, v1
	v_sub_f16_e32 v1, v9, v1
	v_fmamk_f16 v9, v44, 0xbb9c, v32
	v_fmac_f16_e32 v32, 0x3b9c, v44
	v_mul_f16_e32 v3, 0xb8b4, v23
	v_fmac_f16_e32 v16, -0.5, v10
	v_add_f16_e32 v1, v7, v1
	v_fmac_f16_e32 v9, 0x38b4, v42
	v_fmac_f16_e32 v32, 0xb8b4, v42
	;; [unrolled: 1-line block ×3, first 2 shown]
	v_add_f16_e32 v45, v39, v31
	s_delay_alu instid0(VALU_DEP_4) | instskip(NEXT) | instid1(VALU_DEP_4)
	v_fmac_f16_e32 v9, 0x34f2, v6
	v_fmac_f16_e32 v32, 0x34f2, v6
	v_add_f16_e32 v6, v5, v0
	v_sub_f16_e32 v0, v2, v0
	v_fmamk_f16 v2, v30, 0x3b9c, v16
	v_fmac_f16_e32 v16, 0xbb9c, v30
	v_sub_f16_e32 v5, v8, v5
	v_fmac_f16_e32 v4, -0.5, v6
	v_add_f16_e32 v8, v37, v3
	v_fmac_f16_e32 v2, 0xb8b4, v28
	v_fmac_f16_e32 v16, 0x38b4, v28
	v_add_f16_e32 v0, v5, v0
	v_pack_b32_f16 v45, v45, v46
	s_delay_alu instid0(VALU_DEP_4) | instskip(NEXT) | instid1(VALU_DEP_4)
	v_fmac_f16_e32 v2, 0x34f2, v1
	v_fmac_f16_e32 v16, 0x34f2, v1
	v_fmamk_f16 v1, v27, 0xbb9c, v4
	v_fmac_f16_e32 v4, 0x3b9c, v27
	ds_store_2addr_b32 v179, v36, v45 offset1:30
	v_fmac_f16_e32 v1, 0x38b4, v25
	v_fmac_f16_e32 v4, 0xb8b4, v25
	s_delay_alu instid0(VALU_DEP_2) | instskip(NEXT) | instid1(VALU_DEP_2)
	v_fmac_f16_e32 v1, 0x34f2, v0
	v_fmac_f16_e32 v4, 0x34f2, v0
	s_delay_alu instid0(VALU_DEP_2) | instskip(SKIP_1) | instid1(VALU_DEP_2)
	v_mul_f16_e32 v0, 0xbb9c, v1
	v_mul_f16_e32 v1, 0x34f2, v1
	v_fmac_f16_e32 v0, 0x34f2, v2
	s_delay_alu instid0(VALU_DEP_2) | instskip(SKIP_2) | instid1(VALU_DEP_4)
	v_fmac_f16_e32 v1, 0x3b9c, v2
	v_mul_f16_e32 v2, 0xbb9c, v4
	v_mul_f16_e32 v4, 0xb4f2, v4
	v_add_f16_e32 v5, v12, v0
	s_delay_alu instid0(VALU_DEP_4) | instskip(NEXT) | instid1(VALU_DEP_4)
	v_add_f16_e32 v6, v9, v1
	v_fmac_f16_e32 v2, 0xb4f2, v16
	s_delay_alu instid0(VALU_DEP_4)
	v_fmac_f16_e32 v4, 0x3b9c, v16
	v_sub_f16_e32 v0, v12, v0
	v_sub_f16_e32 v1, v9, v1
	v_pack_b32_f16 v5, v5, v6
	v_add_f16_e32 v6, v24, v2
	v_add_f16_e32 v7, v32, v4
	s_delay_alu instid0(VALU_DEP_4) | instskip(SKIP_1) | instid1(VALU_DEP_3)
	v_pack_b32_f16 v0, v0, v1
	v_sub_f16_e32 v1, v37, v3
	v_pack_b32_f16 v6, v6, v7
	v_sub_f16_e32 v7, v33, v35
	ds_store_2addr_b32 v179, v5, v6 offset0:60 offset1:90
	v_mul_f16_e32 v5, 0xba79, v23
	v_sub_f16_e32 v6, v29, v34
	s_delay_alu instid0(VALU_DEP_2) | instskip(NEXT) | instid1(VALU_DEP_2)
	v_fmac_f16_e32 v5, 0x38b4, v22
	v_pack_b32_f16 v6, v6, v7
	v_sub_f16_e32 v7, v43, v26
	s_delay_alu instid0(VALU_DEP_3) | instskip(SKIP_1) | instid1(VALU_DEP_2)
	v_add_f16_e32 v10, v41, v5
	v_sub_f16_e32 v3, v41, v5
	v_pack_b32_f16 v8, v8, v10
	s_delay_alu instid0(VALU_DEP_2) | instskip(SKIP_2) | instid1(VALU_DEP_1)
	v_pack_b32_f16 v1, v1, v3
	ds_store_2addr_b32 v179, v8, v6 offset0:120 offset1:150
	v_sub_f16_e32 v6, v39, v31
	v_pack_b32_f16 v6, v6, v7
	ds_store_2addr_b32 v179, v6, v0 offset0:180 offset1:210
	v_sub_f16_e32 v0, v24, v2
	v_sub_f16_e32 v2, v32, v4
	s_delay_alu instid0(VALU_DEP_1)
	v_pack_b32_f16 v0, v0, v2
	scratch_load_b32 v2, off, off offset:260 ; 4-byte Folded Reload
	s_waitcnt vmcnt(0)
	ds_store_2addr_b32 v2, v0, v1 offset0:112 offset1:142
	s_waitcnt lgkmcnt(0)
	s_barrier
	buffer_gl0_inv
	ds_load_2addr_b32 v[0:1], v251 offset0:132 offset1:222
	ds_load_2addr_b32 v[7:8], v167 offset0:88 offset1:178
	s_waitcnt lgkmcnt(1)
	v_lshrrev_b32_e32 v2, 16, v0
	v_mul_f16_e64 v3, v193, v0
	s_waitcnt lgkmcnt(0)
	v_mul_f16_e64 v13, v218, v8
	s_delay_alu instid0(VALU_DEP_3) | instskip(NEXT) | instid1(VALU_DEP_3)
	v_mul_f16_e64 v9, v193, v2
	v_fma_f16 v10, v51, v2, -v3
	ds_load_2addr_b32 v[2:3], v163 offset0:8 offset1:98
	v_fmac_f16_e32 v9, v51, v0
	v_lshrrev_b32_e32 v0, 16, v1
	s_delay_alu instid0(VALU_DEP_1) | instskip(NEXT) | instid1(VALU_DEP_1)
	v_mul_f16_e64 v16, v192, v0
	v_fmac_f16_e32 v16, v63, v1
	v_mul_f16_e64 v1, v192, v1
	s_waitcnt lgkmcnt(0)
	v_lshrrev_b32_e32 v4, 16, v2
	s_delay_alu instid0(VALU_DEP_2) | instskip(SKIP_3) | instid1(VALU_DEP_2)
	v_fma_f16 v18, v63, v0, -v1
	ds_load_2addr_b32 v[0:1], v128 offset0:56 offset1:146
	v_mul_f16_e64 v5, v195, v2
	v_mul_f16_e64 v11, v195, v4
	v_fma_f16 v12, v52, v4, -v5
	v_mul_f16_e64 v4, v194, v3
	s_delay_alu instid0(VALU_DEP_3) | instskip(SKIP_1) | instid1(VALU_DEP_2)
	v_fmac_f16_e32 v11, v52, v2
	v_lshrrev_b32_e32 v2, 16, v3
	v_add_f16_e32 v15, v9, v11
	s_delay_alu instid0(VALU_DEP_2) | instskip(SKIP_1) | instid1(VALU_DEP_2)
	v_mul_f16_e64 v17, v194, v2
	v_fma_f16 v19, v64, v2, -v4
	v_fmac_f16_e32 v17, v64, v3
	s_waitcnt lgkmcnt(0)
	v_lshrrev_b32_e32 v2, 16, v0
	v_mul_f16_e64 v3, v203, v0
	s_delay_alu instid0(VALU_DEP_2) | instskip(NEXT) | instid1(VALU_DEP_2)
	v_mul_f16_e64 v20, v203, v2
	v_fma_f16 v21, v69, v2, -v3
	ds_load_2addr_b32 v[2:3], v241 offset0:60 offset1:150
	v_fmac_f16_e32 v20, v69, v0
	v_lshrrev_b32_e32 v0, 16, v1
	s_delay_alu instid0(VALU_DEP_1) | instskip(NEXT) | instid1(VALU_DEP_1)
	v_mul_f16_e64 v24, v206, v0
	v_fmac_f16_e32 v24, v67, v1
	v_mul_f16_e64 v1, v206, v1
	s_waitcnt lgkmcnt(0)
	v_lshrrev_b32_e32 v4, 16, v2
	s_delay_alu instid0(VALU_DEP_2) | instskip(SKIP_3) | instid1(VALU_DEP_2)
	v_fma_f16 v26, v67, v0, -v1
	ds_load_2addr_b32 v[0:1], v95 offset0:108 offset1:198
	v_mul_f16_e64 v5, v200, v2
	v_mul_f16_e64 v22, v200, v4
	v_fma_f16 v23, v70, v4, -v5
	v_mul_f16_e64 v4, v204, v3
	s_delay_alu instid0(VALU_DEP_3) | instskip(SKIP_1) | instid1(VALU_DEP_1)
	v_fmac_f16_e32 v22, v70, v2
	v_lshrrev_b32_e32 v2, 16, v3
	v_mul_f16_e64 v25, v204, v2
	s_delay_alu instid0(VALU_DEP_4) | instskip(NEXT) | instid1(VALU_DEP_2)
	v_fma_f16 v27, v68, v2, -v4
	v_fmac_f16_e32 v25, v68, v3
	s_waitcnt lgkmcnt(0)
	v_lshrrev_b32_e32 v2, 16, v0
	v_mul_f16_e64 v3, v209, v0
	s_delay_alu instid0(VALU_DEP_2) | instskip(NEXT) | instid1(VALU_DEP_2)
	v_mul_f16_e64 v28, v209, v2
	v_fma_f16 v29, v55, v2, -v3
	ds_load_2addr_b32 v[2:3], v185 offset0:112 offset1:202
	v_fmac_f16_e32 v28, v55, v0
	v_lshrrev_b32_e32 v0, 16, v1
	s_delay_alu instid0(VALU_DEP_1) | instskip(NEXT) | instid1(VALU_DEP_1)
	v_mul_f16_e64 v32, v207, v0
	v_fmac_f16_e32 v32, v53, v1
	v_mul_f16_e64 v1, v207, v1
	s_waitcnt lgkmcnt(0)
	v_lshrrev_b32_e32 v4, 16, v2
	s_delay_alu instid0(VALU_DEP_2) | instskip(SKIP_3) | instid1(VALU_DEP_2)
	v_fma_f16 v34, v53, v0, -v1
	ds_load_2addr_b32 v[0:1], v119 offset0:160 offset1:250
	v_mul_f16_e64 v5, v210, v2
	v_mul_f16_e64 v30, v210, v4
	v_fma_f16 v31, v56, v4, -v5
	v_mul_f16_e64 v4, v208, v3
	s_delay_alu instid0(VALU_DEP_3) | instskip(SKIP_1) | instid1(VALU_DEP_1)
	v_fmac_f16_e32 v30, v56, v2
	v_lshrrev_b32_e32 v2, 16, v3
	v_mul_f16_e64 v33, v208, v2
	s_delay_alu instid0(VALU_DEP_4) | instskip(NEXT) | instid1(VALU_DEP_2)
	v_fma_f16 v35, v54, v2, -v4
	v_fmac_f16_e32 v33, v54, v3
	s_waitcnt lgkmcnt(0)
	v_lshrrev_b32_e32 v2, 16, v0
	v_mul_f16_e64 v3, v226, v0
	v_add_nc_u32_e32 v54, 0xe00, v190
	s_delay_alu instid0(VALU_DEP_3) | instskip(NEXT) | instid1(VALU_DEP_3)
	v_mul_f16_e64 v36, v226, v2
	v_fma_f16 v37, v65, v2, -v3
	ds_load_2addr_b32 v[2:3], v178 offset0:36 offset1:126
	v_fmac_f16_e32 v36, v65, v0
	v_lshrrev_b32_e32 v0, 16, v1
	s_delay_alu instid0(VALU_DEP_1) | instskip(NEXT) | instid1(VALU_DEP_1)
	v_mul_f16_e64 v40, v221, v0
	v_fmac_f16_e32 v40, v61, v1
	v_mul_f16_e64 v1, v221, v1
	s_waitcnt lgkmcnt(0)
	v_lshrrev_b32_e32 v4, 16, v2
	v_mul_f16_e64 v5, v227, v2
	s_delay_alu instid0(VALU_DEP_3) | instskip(NEXT) | instid1(VALU_DEP_3)
	v_fma_f16 v42, v61, v0, -v1
	v_mul_f16_e64 v38, v227, v4
	s_delay_alu instid0(VALU_DEP_3) | instskip(SKIP_4) | instid1(VALU_DEP_1)
	v_fma_f16 v39, v66, v4, -v5
	ds_load_2addr_b32 v[5:6], v176 offset0:84 offset1:174
	v_mul_f16_e64 v4, v225, v3
	v_fmac_f16_e32 v38, v66, v2
	v_lshrrev_b32_e32 v2, 16, v3
	v_mul_f16_e64 v41, v225, v2
	s_delay_alu instid0(VALU_DEP_4) | instskip(SKIP_1) | instid1(VALU_DEP_3)
	v_fma_f16 v43, v62, v2, -v4
	v_mul_f16_e64 v4, v223, v7
	v_fmac_f16_e32 v41, v62, v3
	v_lshrrev_b32_e32 v3, 16, v7
	s_waitcnt lgkmcnt(0)
	v_lshrrev_b32_e32 v1, 16, v5
	v_mul_f16_e64 v2, v222, v5
	s_delay_alu instid0(VALU_DEP_3) | instskip(NEXT) | instid1(VALU_DEP_3)
	v_fma_f16 v4, v60, v3, -v4
	v_mul_f16_e64 v0, v222, v1
	s_delay_alu instid0(VALU_DEP_3) | instskip(SKIP_1) | instid1(VALU_DEP_3)
	v_fma_f16 v1, v59, v1, -v2
	v_mul_f16_e64 v2, v223, v3
	v_fmac_f16_e32 v0, v59, v5
	v_lshrrev_b32_e32 v5, 16, v6
	s_delay_alu instid0(VALU_DEP_3) | instskip(SKIP_1) | instid1(VALU_DEP_3)
	v_fmac_f16_e32 v2, v60, v7
	v_lshrrev_b32_e32 v7, 16, v8
	v_mul_f16_e64 v44, v214, v5
	s_delay_alu instid0(VALU_DEP_2) | instskip(NEXT) | instid1(VALU_DEP_2)
	v_mul_f16_e64 v3, v218, v7
	v_fmac_f16_e32 v44, v57, v6
	v_mul_f16_e64 v6, v214, v6
	s_delay_alu instid0(VALU_DEP_3) | instskip(NEXT) | instid1(VALU_DEP_2)
	v_fmac_f16_e32 v3, v58, v8
	v_fma_f16 v45, v57, v5, -v6
	v_fma_f16 v5, v58, v7, -v13
	ds_load_2addr_b32 v[6:7], v190 offset1:90
	v_add_f16_e32 v13, v10, v12
	s_waitcnt lgkmcnt(0)
	v_lshrrev_b32_e32 v8, 16, v6
	v_lshrrev_b32_e32 v48, 16, v7
	s_delay_alu instid0(VALU_DEP_2)
	v_add_f16_e32 v14, v8, v10
	v_fmac_f16_e32 v8, -0.5, v13
	v_add_f16_e32 v13, v6, v9
	v_sub_f16_e32 v9, v9, v11
	v_fma_f16 v6, -0.5, v15, v6
	v_sub_f16_e32 v10, v10, v12
	s_delay_alu instid0(VALU_DEP_4) | instskip(NEXT) | instid1(VALU_DEP_2)
	v_add_f16_e32 v13, v13, v11
	v_fmamk_f16 v11, v10, 0xbaee, v6
	v_fmac_f16_e32 v6, 0x3aee, v10
	v_add_f16_e32 v10, v14, v12
	v_fmamk_f16 v12, v9, 0x3aee, v8
	v_fmac_f16_e32 v8, 0xbaee, v9
	v_add_f16_e32 v9, v48, v18
	s_delay_alu instid0(VALU_DEP_4) | instskip(NEXT) | instid1(VALU_DEP_4)
	v_pack_b32_f16 v46, v13, v10
	v_pack_b32_f16 v47, v11, v12
	s_delay_alu instid0(VALU_DEP_4) | instskip(SKIP_2) | instid1(VALU_DEP_2)
	v_pack_b32_f16 v6, v6, v8
	v_add_f16_e32 v8, v7, v16
	v_add_f16_e32 v9, v9, v19
	;; [unrolled: 1-line block ×3, first 2 shown]
	s_delay_alu instid0(VALU_DEP_1)
	v_pack_b32_f16 v49, v8, v9
	ds_load_2addr_b32 v[8:9], v255 offset0:52 offset1:142
	ds_load_2addr_b32 v[10:11], v135 offset0:104 offset1:194
	;; [unrolled: 1-line block ×4, first 2 shown]
	s_waitcnt lgkmcnt(0)
	s_barrier
	buffer_gl0_inv
	ds_store_b32 v190, v47 offset:1200
	ds_store_b32 v190, v6 offset:2400
	ds_store_2addr_b32 v190, v46, v49 offset1:90
	v_add_f16_e32 v6, v16, v17
	s_delay_alu instid0(VALU_DEP_1) | instskip(SKIP_3) | instid1(VALU_DEP_3)
	v_fmac_f16_e32 v7, -0.5, v6
	v_add_f16_e32 v6, v18, v19
	v_sub_f16_e32 v18, v18, v19
	v_add_f16_e32 v19, v21, v23
	v_fmac_f16_e32 v48, -0.5, v6
	v_sub_f16_e32 v6, v16, v17
	s_delay_alu instid0(VALU_DEP_4) | instskip(SKIP_1) | instid1(VALU_DEP_3)
	v_fmamk_f16 v16, v18, 0xbaee, v7
	v_fmac_f16_e32 v7, 0x3aee, v18
	v_fmamk_f16 v17, v6, 0x3aee, v48
	v_fmac_f16_e32 v48, 0xbaee, v6
	s_delay_alu instid0(VALU_DEP_2) | instskip(NEXT) | instid1(VALU_DEP_2)
	v_pack_b32_f16 v16, v16, v17
	v_pack_b32_f16 v6, v7, v48
	v_lshrrev_b32_e32 v7, 16, v8
	s_delay_alu instid0(VALU_DEP_1) | instskip(SKIP_3) | instid1(VALU_DEP_4)
	v_add_f16_e32 v18, v7, v21
	v_sub_f16_e32 v21, v21, v23
	v_fmac_f16_e32 v7, -0.5, v19
	v_add_f16_e32 v19, v8, v20
	v_add_f16_e32 v18, v18, v23
	;; [unrolled: 1-line block ×3, first 2 shown]
	v_sub_f16_e32 v20, v20, v22
	s_delay_alu instid0(VALU_DEP_4) | instskip(NEXT) | instid1(VALU_DEP_3)
	v_add_f16_e32 v19, v19, v22
	v_fma_f16 v8, -0.5, v23, v8
	s_delay_alu instid0(VALU_DEP_2) | instskip(NEXT) | instid1(VALU_DEP_4)
	v_pack_b32_f16 v17, v19, v18
	v_fmamk_f16 v19, v20, 0x3aee, v7
	v_fmac_f16_e32 v7, 0xbaee, v20
	s_delay_alu instid0(VALU_DEP_4) | instskip(SKIP_1) | instid1(VALU_DEP_2)
	v_fmamk_f16 v18, v21, 0xbaee, v8
	v_fmac_f16_e32 v8, 0x3aee, v21
	v_pack_b32_f16 v18, v18, v19
	s_delay_alu instid0(VALU_DEP_2)
	v_pack_b32_f16 v7, v8, v7
	ds_store_b32 v190, v17 offset:720
	ds_store_2addr_b32 v135, v16, v18 offset0:134 offset1:224
	v_add_f16_e32 v8, v9, v24
	ds_store_2addr_b32 v162, v6, v7 offset0:50 offset1:140
	v_add_f16_e32 v6, v24, v25
	v_lshrrev_b32_e32 v7, 16, v9
	s_delay_alu instid0(VALU_DEP_2) | instskip(SKIP_1) | instid1(VALU_DEP_3)
	v_fmac_f16_e32 v9, -0.5, v6
	v_sub_f16_e32 v6, v26, v27
	v_add_f16_e32 v17, v7, v26
	s_delay_alu instid0(VALU_DEP_2) | instskip(SKIP_2) | instid1(VALU_DEP_1)
	v_fmamk_f16 v16, v6, 0xbaee, v9
	v_fmac_f16_e32 v9, 0x3aee, v6
	v_add_f16_e32 v6, v26, v27
	v_fmac_f16_e32 v7, -0.5, v6
	v_sub_f16_e32 v6, v24, v25
	s_delay_alu instid0(VALU_DEP_1) | instskip(SKIP_1) | instid1(VALU_DEP_1)
	v_fmamk_f16 v18, v6, 0x3aee, v7
	v_fmac_f16_e32 v7, 0xbaee, v6
	v_pack_b32_f16 v6, v9, v7
	v_add_f16_e32 v7, v8, v25
	v_add_f16_e32 v8, v17, v27
	v_lshrrev_b32_e32 v9, 16, v11
	s_delay_alu instid0(VALU_DEP_2)
	v_pack_b32_f16 v7, v7, v8
	v_pack_b32_f16 v8, v16, v18
	ds_store_b32 v183, v7
	ds_store_b32 v183, v8 offset:1200
	ds_store_b32 v183, v6 offset:2400
	v_lshrrev_b32_e32 v7, 16, v10
	v_add_f16_e32 v6, v10, v28
	v_add_f16_e32 v16, v9, v34
	s_delay_alu instid0(VALU_DEP_3) | instskip(NEXT) | instid1(VALU_DEP_3)
	v_add_f16_e32 v8, v7, v29
	v_add_f16_e32 v6, v6, v30
	s_delay_alu instid0(VALU_DEP_3) | instskip(NEXT) | instid1(VALU_DEP_3)
	v_add_f16_e32 v16, v16, v35
	v_add_f16_e32 v8, v8, v31
	s_delay_alu instid0(VALU_DEP_1) | instskip(SKIP_1) | instid1(VALU_DEP_1)
	v_pack_b32_f16 v6, v6, v8
	v_add_f16_e32 v8, v11, v32
	v_add_f16_e32 v8, v8, v33
	s_delay_alu instid0(VALU_DEP_1) | instskip(SKIP_3) | instid1(VALU_DEP_2)
	v_pack_b32_f16 v8, v8, v16
	ds_store_2addr_b32 v54, v6, v8 offset0:64 offset1:154
	v_add_f16_e32 v6, v32, v33
	v_sub_f16_e32 v8, v34, v35
	v_fmac_f16_e32 v11, -0.5, v6
	v_add_f16_e32 v6, v34, v35
	s_delay_alu instid0(VALU_DEP_2) | instskip(NEXT) | instid1(VALU_DEP_2)
	v_fmamk_f16 v16, v8, 0xbaee, v11
	v_fmac_f16_e32 v9, -0.5, v6
	v_sub_f16_e32 v6, v32, v33
	v_fmac_f16_e32 v11, 0x3aee, v8
	s_delay_alu instid0(VALU_DEP_2) | instskip(SKIP_2) | instid1(VALU_DEP_3)
	v_fmamk_f16 v8, v6, 0x3aee, v9
	v_fmac_f16_e32 v9, 0xbaee, v6
	v_add_f16_e32 v6, v28, v30
	v_pack_b32_f16 v8, v16, v8
	s_delay_alu instid0(VALU_DEP_3) | instskip(NEXT) | instid1(VALU_DEP_3)
	v_pack_b32_f16 v9, v11, v9
	v_fma_f16 v6, -0.5, v6, v10
	v_add_f16_e32 v10, v29, v31
	v_sub_f16_e32 v11, v28, v30
	s_delay_alu instid0(VALU_DEP_2) | instskip(SKIP_1) | instid1(VALU_DEP_2)
	v_fmac_f16_e32 v7, -0.5, v10
	v_sub_f16_e32 v10, v29, v31
	v_fmamk_f16 v18, v11, 0x3aee, v7
	s_delay_alu instid0(VALU_DEP_2)
	v_fmamk_f16 v17, v10, 0xbaee, v6
	v_fmac_f16_e32 v6, 0x3aee, v10
	v_fmac_f16_e32 v7, 0xbaee, v11
	v_sub_f16_e32 v10, v36, v38
	v_sub_f16_e32 v11, v37, v39
	v_pack_b32_f16 v17, v17, v18
	s_delay_alu instid0(VALU_DEP_4)
	v_pack_b32_f16 v6, v6, v7
	v_add_f16_e32 v7, v37, v39
	ds_store_2addr_b32 v95, v17, v8 offset0:108 offset1:198
	ds_store_2addr_b32 v176, v6, v9 offset0:24 offset1:114
	v_lshrrev_b32_e32 v6, 16, v12
	v_add_f16_e32 v9, v36, v38
	s_delay_alu instid0(VALU_DEP_2) | instskip(SKIP_2) | instid1(VALU_DEP_4)
	v_add_f16_e32 v8, v6, v37
	v_fmac_f16_e32 v6, -0.5, v7
	v_add_f16_e32 v7, v12, v36
	v_fma_f16 v9, -0.5, v9, v12
	s_delay_alu instid0(VALU_DEP_4) | instskip(NEXT) | instid1(VALU_DEP_3)
	v_add_f16_e32 v8, v8, v39
	v_add_f16_e32 v7, v7, v38
	s_delay_alu instid0(VALU_DEP_3) | instskip(SKIP_4) | instid1(VALU_DEP_3)
	v_fmamk_f16 v12, v11, 0xbaee, v9
	v_fmac_f16_e32 v9, 0x3aee, v11
	v_fmamk_f16 v11, v10, 0x3aee, v6
	v_fmac_f16_e32 v6, 0xbaee, v10
	v_pack_b32_f16 v7, v7, v8
	v_pack_b32_f16 v8, v12, v11
	s_delay_alu instid0(VALU_DEP_3)
	v_pack_b32_f16 v6, v9, v6
	ds_store_b32 v191, v7
	ds_store_b32 v191, v8 offset:1200
	ds_store_b32 v191, v6 offset:2400
	v_add_f16_e32 v6, v40, v41
	v_lshrrev_b32_e32 v7, 16, v13
	v_add_f16_e32 v8, v13, v40
	v_lshrrev_b32_e32 v12, 16, v15
	s_delay_alu instid0(VALU_DEP_4) | instskip(SKIP_2) | instid1(VALU_DEP_4)
	v_fmac_f16_e32 v13, -0.5, v6
	v_add_f16_e32 v6, v42, v43
	v_add_f16_e32 v9, v7, v42
	;; [unrolled: 1-line block ×3, first 2 shown]
	s_delay_alu instid0(VALU_DEP_3) | instskip(SKIP_1) | instid1(VALU_DEP_1)
	v_fmac_f16_e32 v7, -0.5, v6
	v_sub_f16_e32 v6, v42, v43
	v_fmamk_f16 v10, v6, 0xbaee, v13
	v_fmac_f16_e32 v13, 0x3aee, v6
	v_sub_f16_e32 v6, v40, v41
	s_delay_alu instid0(VALU_DEP_1) | instskip(SKIP_1) | instid1(VALU_DEP_1)
	v_fmamk_f16 v11, v6, 0x3aee, v7
	v_fmac_f16_e32 v7, 0xbaee, v6
	v_pack_b32_f16 v6, v13, v7
	v_add_f16_e32 v7, v8, v41
	v_add_f16_e32 v8, v9, v43
	;; [unrolled: 1-line block ×4, first 2 shown]
	s_delay_alu instid0(VALU_DEP_3) | instskip(NEXT) | instid1(VALU_DEP_3)
	v_pack_b32_f16 v7, v7, v8
	v_fmac_f16_e32 v15, -0.5, v9
	v_add_f16_e32 v9, v45, v5
	v_pack_b32_f16 v8, v10, v11
	ds_store_b32 v189, v7 offset:7200
	ds_store_b32 v189, v8 offset:8400
	;; [unrolled: 1-line block ×3, first 2 shown]
	v_fmac_f16_e32 v12, -0.5, v9
	v_sub_f16_e32 v9, v45, v5
	v_add_f16_e32 v6, v1, v4
	s_delay_alu instid0(VALU_DEP_2) | instskip(SKIP_2) | instid1(VALU_DEP_1)
	v_fmamk_f16 v17, v9, 0xbaee, v15
	v_fmac_f16_e32 v15, 0x3aee, v9
	v_sub_f16_e32 v9, v44, v3
	v_fmamk_f16 v18, v9, 0x3aee, v12
	v_fmac_f16_e32 v12, 0xbaee, v9
	v_add_f16_e32 v9, v0, v2
	s_delay_alu instid0(VALU_DEP_2) | instskip(NEXT) | instid1(VALU_DEP_2)
	v_pack_b32_f16 v12, v15, v12
	v_fma_f16 v9, -0.5, v9, v14
	v_add_f16_e32 v15, v14, v0
	v_lshrrev_b32_e32 v14, 16, v14
	v_sub_f16_e32 v0, v0, v2
	s_delay_alu instid0(VALU_DEP_3) | instskip(NEXT) | instid1(VALU_DEP_3)
	v_add_f16_e32 v10, v15, v2
	v_add_f16_e32 v11, v14, v1
	v_sub_f16_e32 v1, v1, v4
	v_fmac_f16_e32 v14, -0.5, v6
	s_delay_alu instid0(VALU_DEP_3) | instskip(NEXT) | instid1(VALU_DEP_3)
	v_add_f16_e32 v11, v11, v4
	v_fmamk_f16 v2, v1, 0xbaee, v9
	v_fmac_f16_e32 v9, 0x3aee, v1
	s_delay_alu instid0(VALU_DEP_4)
	v_fmamk_f16 v1, v0, 0x3aee, v14
	v_fmac_f16_e32 v14, 0xbaee, v0
	v_add_f16_e32 v0, v13, v3
	v_add_f16_e32 v3, v16, v5
	v_pack_b32_f16 v10, v10, v11
	v_pack_b32_f16 v1, v2, v1
	;; [unrolled: 1-line block ×3, first 2 shown]
	ds_store_b32 v187, v10 offset:7200
	ds_store_b32 v187, v1 offset:8400
	;; [unrolled: 1-line block ×3, first 2 shown]
	v_pack_b32_f16 v0, v0, v3
	v_pack_b32_f16 v1, v17, v18
	ds_store_b32 v188, v0 offset:7200
	ds_store_b32 v188, v1 offset:8400
	;; [unrolled: 1-line block ×3, first 2 shown]
	s_waitcnt lgkmcnt(0)
	s_barrier
	buffer_gl0_inv
	ds_load_2addr_b32 v[0:1], v251 offset0:132 offset1:222
	s_waitcnt lgkmcnt(0)
	v_lshrrev_b32_e32 v2, 16, v0
	v_mul_f16_e64 v3, v219, v0
	s_delay_alu instid0(VALU_DEP_2) | instskip(NEXT) | instid1(VALU_DEP_2)
	v_mul_f16_e64 v4, v219, v2
	v_fma_f16 v5, v77, v2, -v3
	ds_load_2addr_b32 v[2:3], v163 offset0:8 offset1:98
	v_fmac_f16_e32 v4, v77, v0
	v_lshrrev_b32_e32 v0, 16, v1
	s_delay_alu instid0(VALU_DEP_1) | instskip(NEXT) | instid1(VALU_DEP_1)
	v_mul_f16_e64 v35, v211, v0
	v_fmac_f16_e32 v35, v75, v1
	v_mul_f16_e64 v1, v211, v1
	s_waitcnt lgkmcnt(0)
	v_lshrrev_b32_e32 v6, 16, v2
	s_delay_alu instid0(VALU_DEP_2) | instskip(SKIP_3) | instid1(VALU_DEP_2)
	v_fma_f16 v37, v75, v0, -v1
	ds_load_2addr_b32 v[0:1], v128 offset0:56 offset1:146
	v_mul_f16_e64 v7, v220, v2
	v_mul_f16_e64 v8, v220, v6
	v_fma_f16 v6, v78, v6, -v7
	v_mul_f16_e64 v7, v212, v3
	s_delay_alu instid0(VALU_DEP_3) | instskip(SKIP_1) | instid1(VALU_DEP_1)
	v_fmac_f16_e32 v8, v78, v2
	v_lshrrev_b32_e32 v2, 16, v3
	v_mul_f16_e64 v36, v212, v2
	s_delay_alu instid0(VALU_DEP_4) | instskip(NEXT) | instid1(VALU_DEP_2)
	v_fma_f16 v38, v76, v2, -v7
	v_fmac_f16_e32 v36, v76, v3
	s_waitcnt lgkmcnt(0)
	v_lshrrev_b32_e32 v2, 16, v0
	v_mul_f16_e64 v3, v229, v0
	s_delay_alu instid0(VALU_DEP_2) | instskip(NEXT) | instid1(VALU_DEP_2)
	v_mul_f16_e64 v11, v229, v2
	v_fma_f16 v39, v73, v2, -v3
	ds_load_2addr_b32 v[2:3], v241 offset0:60 offset1:150
	v_fmac_f16_e32 v11, v73, v0
	v_lshrrev_b32_e32 v0, 16, v1
	s_delay_alu instid0(VALU_DEP_1) | instskip(NEXT) | instid1(VALU_DEP_1)
	v_mul_f16_e64 v10, v231, v0
	v_fmac_f16_e32 v10, v71, v1
	v_mul_f16_e64 v1, v231, v1
	s_waitcnt lgkmcnt(0)
	v_lshrrev_b32_e32 v7, 16, v2
	s_delay_alu instid0(VALU_DEP_2) | instskip(SKIP_3) | instid1(VALU_DEP_2)
	v_fma_f16 v18, v71, v0, -v1
	ds_load_2addr_b32 v[0:1], v95 offset0:108 offset1:198
	v_mul_f16_e64 v9, v228, v2
	v_mul_f16_e64 v12, v228, v7
	v_fma_f16 v13, v74, v7, -v9
	v_mul_f16_e64 v7, v230, v3
	s_delay_alu instid0(VALU_DEP_3) | instskip(SKIP_1) | instid1(VALU_DEP_4)
	v_fmac_f16_e32 v12, v74, v2
	v_lshrrev_b32_e32 v2, 16, v3
	v_sub_f16_e32 v52, v39, v13
	s_delay_alu instid0(VALU_DEP_3) | instskip(NEXT) | instid1(VALU_DEP_3)
	v_sub_f16_e32 v53, v11, v12
	v_mul_f16_e64 v14, v230, v2
	v_fma_f16 v20, v72, v2, -v7
	s_delay_alu instid0(VALU_DEP_2) | instskip(SKIP_3) | instid1(VALU_DEP_2)
	v_fmac_f16_e32 v14, v72, v3
	s_waitcnt lgkmcnt(0)
	v_lshrrev_b32_e32 v2, 16, v0
	v_mul_f16_e64 v3, v244, v0
	v_mul_f16_e64 v17, v244, v2
	s_delay_alu instid0(VALU_DEP_2) | instskip(SKIP_3) | instid1(VALU_DEP_1)
	v_fma_f16 v19, v85, v2, -v3
	ds_load_2addr_b32 v[2:3], v185 offset0:112 offset1:202
	v_fmac_f16_e32 v17, v85, v0
	v_lshrrev_b32_e32 v0, 16, v1
	v_mul_f16_e64 v40, v248, v0
	s_delay_alu instid0(VALU_DEP_1) | instskip(SKIP_3) | instid1(VALU_DEP_2)
	v_fmac_f16_e32 v40, v83, v1
	s_waitcnt lgkmcnt(0)
	v_lshrrev_b32_e32 v7, 16, v2
	v_mul_f16_e64 v9, v243, v2
	v_mul_f16_e64 v15, v243, v7
	s_delay_alu instid0(VALU_DEP_2) | instskip(SKIP_1) | instid1(VALU_DEP_3)
	v_fma_f16 v16, v86, v7, -v9
	v_mul_f16_e64 v7, v246, v3
	v_fmac_f16_e32 v15, v86, v2
	v_mul_f16_e64 v2, v248, v1
	v_lshrrev_b32_e32 v1, 16, v3
	s_delay_alu instid0(VALU_DEP_2) | instskip(NEXT) | instid1(VALU_DEP_2)
	v_fma_f16 v41, v83, v0, -v2
	v_mul_f16_e64 v21, v246, v1
	v_fma_f16 v23, v84, v1, -v7
	ds_load_2addr_b32 v[0:1], v119 offset0:160 offset1:250
	v_fmac_f16_e32 v21, v84, v3
	s_waitcnt lgkmcnt(0)
	v_lshrrev_b32_e32 v2, 16, v0
	v_mul_f16_e64 v3, v250, v0
	s_delay_alu instid0(VALU_DEP_2) | instskip(NEXT) | instid1(VALU_DEP_2)
	v_mul_f16_e64 v22, v250, v2
	v_fma_f16 v42, v233, v2, -v3
	ds_load_2addr_b32 v[2:3], v178 offset0:36 offset1:126
	v_fmac_f16_e64 v22, v233, v0
	v_lshrrev_b32_e32 v0, 16, v1
	s_delay_alu instid0(VALU_DEP_1) | instskip(NEXT) | instid1(VALU_DEP_1)
	v_mul_f16_e64 v43, v253, v0
	v_fmac_f16_e64 v43, v216, v1
	s_waitcnt lgkmcnt(0)
	v_lshrrev_b32_e32 v7, 16, v2
	v_mul_f16_e64 v9, v249, v2
	s_delay_alu instid0(VALU_DEP_2) | instskip(NEXT) | instid1(VALU_DEP_2)
	v_mul_f16_e64 v24, v249, v7
	v_fma_f16 v25, v234, v7, -v9
	v_mul_f16_e64 v7, v252, v3
	s_delay_alu instid0(VALU_DEP_3) | instskip(SKIP_2) | instid1(VALU_DEP_2)
	v_fmac_f16_e64 v24, v234, v2
	v_mul_f16_e64 v2, v253, v1
	v_lshrrev_b32_e32 v1, 16, v3
	v_fma_f16 v44, v216, v0, -v2
	s_delay_alu instid0(VALU_DEP_2)
	v_mul_f16_e64 v27, v252, v1
	v_fma_f16 v30, v217, v1, -v7
	ds_load_2addr_b32 v[0:1], v176 offset0:84 offset1:174
	v_fmac_f16_e64 v27, v217, v3
	s_waitcnt lgkmcnt(0)
	v_lshrrev_b32_e32 v2, 16, v0
	v_mul_f16_e64 v3, v130, v0
	s_delay_alu instid0(VALU_DEP_2) | instskip(NEXT) | instid1(VALU_DEP_2)
	v_mul_f16_e64 v26, v130, v2
	v_fma_f16 v45, v89, v2, -v3
	ds_load_2addr_b32 v[2:3], v167 offset0:88 offset1:178
	v_fmac_f16_e32 v26, v89, v0
	v_lshrrev_b32_e32 v0, 16, v1
	s_delay_alu instid0(VALU_DEP_1) | instskip(NEXT) | instid1(VALU_DEP_1)
	v_mul_f16_e64 v32, v132, v0
	v_fmac_f16_e32 v32, v87, v1
	s_waitcnt lgkmcnt(0)
	v_lshrrev_b32_e32 v7, 16, v2
	v_mul_f16_e32 v9, v116, v2
	s_delay_alu instid0(VALU_DEP_2) | instskip(NEXT) | instid1(VALU_DEP_2)
	v_mul_f16_e32 v28, v116, v7
	v_fma_f16 v29, v90, v7, -v9
	v_mul_f16_e64 v7, v131, v3
	v_add_f16_e32 v9, v4, v8
	s_delay_alu instid0(VALU_DEP_4) | instskip(SKIP_2) | instid1(VALU_DEP_3)
	v_fmac_f16_e32 v28, v90, v2
	v_mul_f16_e64 v2, v132, v1
	v_lshrrev_b32_e32 v1, 16, v3
	v_sub_f16_e32 v63, v26, v28
	s_delay_alu instid0(VALU_DEP_3) | instskip(NEXT) | instid1(VALU_DEP_3)
	v_fma_f16 v34, v87, v0, -v2
	v_mul_f16_e64 v31, v131, v1
	v_fma_f16 v33, v88, v1, -v7
	ds_load_2addr_b32 v[0:1], v190 offset1:90
	v_fmac_f16_e32 v31, v88, v3
	v_add_f16_e32 v3, v5, v6
	s_waitcnt lgkmcnt(0)
	v_lshrrev_b32_e32 v2, 16, v0
	v_lshrrev_b32_e32 v47, 16, v1
	s_delay_alu instid0(VALU_DEP_2)
	v_add_f16_e32 v7, v2, v5
	v_fmac_f16_e32 v2, -0.5, v3
	v_add_f16_e32 v3, v0, v4
	v_sub_f16_e32 v4, v4, v8
	v_fma_f16 v0, -0.5, v9, v0
	v_sub_f16_e32 v5, v5, v6
	s_delay_alu instid0(VALU_DEP_4) | instskip(NEXT) | instid1(VALU_DEP_2)
	v_add_f16_e32 v3, v3, v8
	v_fmamk_f16 v8, v5, 0xbaee, v0
	v_fmac_f16_e32 v0, 0x3aee, v5
	v_add_f16_e32 v5, v7, v6
	v_fmamk_f16 v6, v4, 0x3aee, v2
	v_fmac_f16_e32 v2, 0xbaee, v4
	v_add_f16_e32 v4, v47, v37
	s_delay_alu instid0(VALU_DEP_4) | instskip(NEXT) | instid1(VALU_DEP_4)
	v_pack_b32_f16 v46, v3, v5
	v_pack_b32_f16 v3, v8, v6
	s_delay_alu instid0(VALU_DEP_4)
	v_pack_b32_f16 v0, v0, v2
	v_add_f16_e32 v2, v1, v35
	v_add_f16_e32 v4, v4, v38
	ds_store_b32 v190, v3 offset:3600
	ds_store_b32 v190, v0 offset:7200
	v_add_f16_e32 v0, v35, v36
	v_add_f16_e32 v2, v2, v36
	s_delay_alu instid0(VALU_DEP_2) | instskip(NEXT) | instid1(VALU_DEP_2)
	v_fmac_f16_e32 v1, -0.5, v0
	v_pack_b32_f16 v48, v2, v4
	ds_load_2addr_b32 v[8:9], v255 offset0:52 offset1:142
	ds_load_2addr_b32 v[6:7], v135 offset0:104 offset1:194
	;; [unrolled: 1-line block ×4, first 2 shown]
	v_add_f16_e32 v0, v37, v38
	ds_store_2addr_b32 v190, v46, v48 offset1:90
	v_sub_f16_e32 v46, v37, v38
	v_fmac_f16_e32 v47, -0.5, v0
	v_add_f16_e32 v0, v39, v13
	v_sub_f16_e32 v48, v35, v36
	v_sub_f16_e32 v37, v42, v25
	s_delay_alu instid0(VALU_DEP_2)
	v_fmamk_f16 v35, v48, 0x3aee, v47
	v_fmac_f16_e32 v47, 0xbaee, v48
	s_waitcnt lgkmcnt(4)
	v_lshrrev_b32_e32 v49, 16, v8
	s_waitcnt lgkmcnt(2)
	v_add_f16_e32 v58, v5, v43
	s_waitcnt lgkmcnt(1)
	v_lshrrev_b32_e32 v60, 16, v2
	v_add_f16_e32 v50, v49, v39
	scratch_load_b64 v[38:39], off, off offset:204 ; 8-byte Folded Reload
	v_fmac_f16_e32 v49, -0.5, v0
	v_fmamk_f16 v0, v46, 0xbaee, v1
	v_add_f16_e32 v61, v60, v45
	s_delay_alu instid0(VALU_DEP_3) | instskip(NEXT) | instid1(VALU_DEP_3)
	v_fmamk_f16 v36, v53, 0x3aee, v49
	v_pack_b32_f16 v0, v0, v35
	v_add_f16_e32 v35, v11, v12
	v_fmac_f16_e32 v49, 0xbaee, v53
	s_delay_alu instid0(VALU_DEP_2) | instskip(NEXT) | instid1(VALU_DEP_1)
	v_fma_f16 v51, -0.5, v35, v8
	v_fmamk_f16 v35, v52, 0xbaee, v51
	v_fmac_f16_e32 v51, 0x3aee, v52
	s_delay_alu instid0(VALU_DEP_2)
	v_pack_b32_f16 v35, v35, v36
	v_add_f16_e32 v36, v42, v25
	ds_store_2addr_b32 v54, v0, v35 offset0:94 offset1:184
	v_add_f16_e32 v0, v40, v21
	v_lshrrev_b32_e32 v35, 16, v7
	v_add_f16_e32 v54, v7, v40
	s_delay_alu instid0(VALU_DEP_3) | instskip(SKIP_1) | instid1(VALU_DEP_4)
	v_fmac_f16_e32 v7, -0.5, v0
	v_add_f16_e32 v0, v41, v23
	v_add_f16_e32 v55, v35, v41
	s_delay_alu instid0(VALU_DEP_2) | instskip(SKIP_1) | instid1(VALU_DEP_1)
	v_fmac_f16_e32 v35, -0.5, v0
	v_sub_f16_e32 v0, v41, v23
	v_fmamk_f16 v41, v0, 0xbaee, v7
	v_fmac_f16_e32 v7, 0x3aee, v0
	v_lshrrev_b32_e32 v0, 16, v4
	s_delay_alu instid0(VALU_DEP_1) | instskip(SKIP_2) | instid1(VALU_DEP_1)
	v_add_f16_e32 v56, v0, v42
	v_fmac_f16_e32 v0, -0.5, v36
	v_add_f16_e32 v36, v22, v24
	v_fma_f16 v36, -0.5, v36, v4
	s_delay_alu instid0(VALU_DEP_1) | instskip(SKIP_2) | instid1(VALU_DEP_1)
	v_fmamk_f16 v42, v37, 0xbaee, v36
	v_fmac_f16_e32 v36, 0x3aee, v37
	v_sub_f16_e32 v37, v22, v24
	v_fmamk_f16 v57, v37, 0x3aee, v0
	v_fmac_f16_e32 v0, 0xbaee, v37
	v_sub_f16_e32 v37, v40, v21
	s_delay_alu instid0(VALU_DEP_2) | instskip(NEXT) | instid1(VALU_DEP_2)
	v_pack_b32_f16 v0, v36, v0
	v_fmamk_f16 v40, v37, 0x3aee, v35
	v_fmac_f16_e32 v35, 0xbaee, v37
	s_delay_alu instid0(VALU_DEP_1)
	v_pack_b32_f16 v7, v7, v35
	v_add_nc_u32_e32 v35, 0x2200, v190
	ds_store_2addr_b32 v35, v7, v0 offset0:74 offset1:164
	v_add_f16_e32 v0, v43, v27
	v_lshrrev_b32_e32 v7, 16, v5
	v_sub_f16_e32 v43, v43, v27
	s_delay_alu instid0(VALU_DEP_3) | instskip(SKIP_1) | instid1(VALU_DEP_4)
	v_fmac_f16_e32 v5, -0.5, v0
	v_add_f16_e32 v0, v44, v30
	v_add_f16_e32 v59, v7, v44
	v_sub_f16_e32 v44, v44, v30
	s_delay_alu instid0(VALU_DEP_3) | instskip(SKIP_2) | instid1(VALU_DEP_3)
	v_fmac_f16_e32 v7, -0.5, v0
	v_add_f16_e32 v0, v45, v29
	v_sub_f16_e32 v45, v45, v29
	v_fmamk_f16 v35, v43, 0x3aee, v7
	s_delay_alu instid0(VALU_DEP_3) | instskip(SKIP_3) | instid1(VALU_DEP_4)
	v_fmac_f16_e32 v60, -0.5, v0
	v_fmamk_f16 v0, v44, 0xbaee, v5
	v_fmac_f16_e32 v5, 0x3aee, v44
	v_fmac_f16_e32 v7, 0xbaee, v43
	v_fmamk_f16 v36, v63, 0x3aee, v60
	s_delay_alu instid0(VALU_DEP_4) | instskip(SKIP_2) | instid1(VALU_DEP_2)
	v_pack_b32_f16 v0, v0, v35
	v_add_f16_e32 v35, v26, v28
	v_fmac_f16_e32 v60, 0xbaee, v63
	v_fma_f16 v62, -0.5, v35, v2
	s_delay_alu instid0(VALU_DEP_1) | instskip(SKIP_1) | instid1(VALU_DEP_2)
	v_fmamk_f16 v35, v45, 0xbaee, v62
	v_fmac_f16_e32 v62, 0x3aee, v45
	v_pack_b32_f16 v35, v35, v36
	v_add_nc_u32_e32 v36, 0x1600, v190
	ds_store_2addr_b32 v36, v0, v35 offset0:122 offset1:212
	s_waitcnt vmcnt(0)
	v_mad_u64_u32 v[35:36], null, s10, v38, 0
	s_delay_alu instid0(VALU_DEP_1) | instskip(NEXT) | instid1(VALU_DEP_1)
	v_mov_b32_e32 v0, v36
	v_mad_u64_u32 v[36:37], null, s11, v38, v[0:1]
	v_mad_u64_u32 v[37:38], null, s8, v159, 0
	s_mov_b32 s10, 0xa0ce5129
	s_mov_b32 s11, 0x3f3845c8
	s_delay_alu instid0(VALU_DEP_2) | instskip(NEXT) | instid1(VALU_DEP_2)
	v_lshlrev_b64 v[35:36], 2, v[35:36]
	v_mov_b32_e32 v0, v38
	s_delay_alu instid0(VALU_DEP_1) | instskip(NEXT) | instid1(VALU_DEP_3)
	v_mad_u64_u32 v[38:39], null, s9, v159, v[0:1]
	v_add_co_u32 v0, vcc_lo, s0, v35
	s_delay_alu instid0(VALU_DEP_4) | instskip(SKIP_1) | instid1(VALU_DEP_4)
	v_add_co_ci_u32_e32 v39, vcc_lo, s1, v36, vcc_lo
	v_fmac_f16_e32 v1, 0x3aee, v46
	v_lshlrev_b64 v[35:36], 2, v[37:38]
	s_delay_alu instid0(VALU_DEP_1) | instskip(NEXT) | instid1(VALU_DEP_3)
	v_add_co_u32 v35, vcc_lo, v0, v35
	v_pack_b32_f16 v0, v1, v47
	v_pack_b32_f16 v1, v51, v49
	s_delay_alu instid0(VALU_DEP_4) | instskip(SKIP_4) | instid1(VALU_DEP_3)
	v_add_co_ci_u32_e32 v36, vcc_lo, v39, v36, vcc_lo
	ds_store_2addr_b32 v163, v0, v1 offset0:98 offset1:188
	v_add_f16_e32 v0, v8, v11
	v_add_f16_e32 v1, v50, v13
	v_lshrrev_b32_e32 v8, 16, v9
	v_add_f16_e32 v0, v0, v12
	s_delay_alu instid0(VALU_DEP_2) | instskip(NEXT) | instid1(VALU_DEP_2)
	v_add_f16_e32 v11, v8, v18
	v_pack_b32_f16 v0, v0, v1
	v_add_f16_e32 v1, v9, v10
	s_delay_alu instid0(VALU_DEP_3) | instskip(NEXT) | instid1(VALU_DEP_2)
	v_add_f16_e32 v11, v11, v20
	v_add_f16_e32 v1, v1, v14
	s_delay_alu instid0(VALU_DEP_1) | instskip(SKIP_4) | instid1(VALU_DEP_2)
	v_pack_b32_f16 v1, v1, v11
	v_add_f16_e32 v11, v19, v16
	ds_store_2addr_b32 v255, v0, v1 offset0:52 offset1:142
	v_add_f16_e32 v0, v10, v14
	v_sub_f16_e32 v1, v18, v20
	v_fmac_f16_e32 v9, -0.5, v0
	v_add_f16_e32 v0, v18, v20
	s_delay_alu instid0(VALU_DEP_1) | instskip(SKIP_1) | instid1(VALU_DEP_4)
	v_fmac_f16_e32 v8, -0.5, v0
	v_sub_f16_e32 v0, v10, v14
	v_fmamk_f16 v10, v1, 0xbaee, v9
	v_fmac_f16_e32 v9, 0x3aee, v1
	s_delay_alu instid0(VALU_DEP_3) | instskip(SKIP_1) | instid1(VALU_DEP_2)
	v_fmamk_f16 v1, v0, 0x3aee, v8
	v_fmac_f16_e32 v8, 0xbaee, v0
	v_pack_b32_f16 v1, v10, v1
	s_delay_alu instid0(VALU_DEP_2) | instskip(SKIP_3) | instid1(VALU_DEP_3)
	v_pack_b32_f16 v0, v9, v8
	v_add_f16_e32 v8, v17, v15
	v_lshrrev_b32_e32 v9, 16, v6
	v_sub_f16_e32 v10, v19, v16
	v_fma_f16 v8, -0.5, v8, v6
	s_delay_alu instid0(VALU_DEP_3)
	v_add_f16_e32 v12, v9, v19
	v_fmac_f16_e32 v9, -0.5, v11
	v_sub_f16_e32 v11, v17, v15
	v_add_f16_e32 v6, v6, v17
	v_fmamk_f16 v13, v10, 0xbaee, v8
	v_fmac_f16_e32 v8, 0x3aee, v10
	s_delay_alu instid0(VALU_DEP_4) | instskip(SKIP_1) | instid1(VALU_DEP_2)
	v_fmamk_f16 v14, v11, 0x3aee, v9
	v_fmac_f16_e32 v9, 0xbaee, v11
	v_pack_b32_f16 v13, v13, v14
	ds_store_2addr_b32 v128, v1, v13 offset0:146 offset1:236
	v_pack_b32_f16 v1, v8, v9
	v_add_f16_e32 v8, v55, v23
	ds_store_2addr_b32 v185, v0, v1 offset0:22 offset1:112
	v_add_f16_e32 v0, v6, v15
	v_add_f16_e32 v1, v12, v16
	;; [unrolled: 1-line block ×3, first 2 shown]
	s_delay_alu instid0(VALU_DEP_2) | instskip(NEXT) | instid1(VALU_DEP_2)
	v_pack_b32_f16 v0, v0, v1
	v_pack_b32_f16 v1, v6, v8
	v_add_f16_e32 v6, v59, v30
	ds_store_2addr_b32 v135, v0, v1 offset0:104 offset1:194
	v_pack_b32_f16 v0, v41, v40
	v_pack_b32_f16 v1, v42, v57
	ds_store_2addr_b32 v119, v0, v1 offset0:70 offset1:160
	v_add_f16_e32 v0, v4, v22
	v_add_f16_e32 v1, v56, v25
	;; [unrolled: 1-line block ×3, first 2 shown]
	s_delay_alu instid0(VALU_DEP_3) | instskip(NEXT) | instid1(VALU_DEP_1)
	v_add_f16_e32 v0, v0, v24
	v_pack_b32_f16 v0, v0, v1
	s_delay_alu instid0(VALU_DEP_3)
	v_pack_b32_f16 v1, v4, v6
	v_lshrrev_b32_e32 v4, 16, v3
	ds_store_2addr_b32 v242, v0, v1 offset0:28 offset1:118
	v_add_f16_e32 v1, v32, v31
	v_pack_b32_f16 v0, v5, v7
	v_add_f16_e32 v5, v3, v32
	v_add_f16_e32 v7, v4, v34
	s_delay_alu instid0(VALU_DEP_4) | instskip(SKIP_1) | instid1(VALU_DEP_1)
	v_fmac_f16_e32 v3, -0.5, v1
	v_sub_f16_e32 v1, v34, v33
	v_fmamk_f16 v6, v1, 0xbaee, v3
	v_fmac_f16_e32 v3, 0x3aee, v1
	v_add_f16_e32 v1, v34, v33
	s_delay_alu instid0(VALU_DEP_1) | instskip(SKIP_1) | instid1(VALU_DEP_1)
	v_fmac_f16_e32 v4, -0.5, v1
	v_sub_f16_e32 v1, v32, v31
	v_fmamk_f16 v8, v1, 0x3aee, v4
	v_fmac_f16_e32 v4, 0xbaee, v1
	v_add_f16_e32 v1, v2, v26
	s_delay_alu instid0(VALU_DEP_2)
	v_pack_b32_f16 v2, v3, v4
	v_pack_b32_f16 v3, v62, v60
	v_add_f16_e32 v4, v7, v33
	ds_store_2addr_b32 v178, v0, v3 offset0:126 offset1:216
	v_add_f16_e32 v0, v1, v28
	v_add_f16_e32 v1, v61, v29
	;; [unrolled: 1-line block ×3, first 2 shown]
	s_delay_alu instid0(VALU_DEP_2) | instskip(NEXT) | instid1(VALU_DEP_2)
	v_pack_b32_f16 v0, v0, v1
	v_pack_b32_f16 v1, v3, v4
	ds_store_2addr_b32 v162, v0, v1 offset0:80 offset1:170
	v_pack_b32_f16 v0, v6, v8
	ds_store_b32 v190, v0 offset:6840
	ds_store_b32 v190, v2 offset:10440
	s_waitcnt lgkmcnt(0)
	s_barrier
	buffer_gl0_inv
	s_clause 0x3
	scratch_load_b32 v15, off, off offset:240
	scratch_load_b32 v16, off, off offset:244
	;; [unrolled: 1-line block ×4, first 2 shown]
	ds_load_2addr_b32 v[4:5], v190 offset1:90
	ds_load_2addr_b32 v[11:12], v251 offset0:132 offset1:222
	s_clause 0x7
	scratch_load_b32 v23, off, off offset:216
	scratch_load_b32 v24, off, off offset:220
	scratch_load_b32 v27, off, off offset:192
	scratch_load_b32 v29, off, off offset:164
	scratch_load_b32 v28, off, off offset:160
	scratch_load_b32 v32, off, off offset:84
	scratch_load_b32 v31, off, off offset:80
	scratch_load_b32 v30, off, off offset:72
	s_waitcnt lgkmcnt(1)
	v_lshrrev_b32_e32 v8, 16, v4
	s_waitcnt lgkmcnt(0)
	v_lshrrev_b32_e32 v19, 16, v11
	s_waitcnt vmcnt(11)
	v_mul_f16_e32 v0, v15, v4
	s_waitcnt vmcnt(10)
	s_delay_alu instid0(VALU_DEP_1) | instskip(NEXT) | instid1(VALU_DEP_1)
	v_fma_f16 v0, v16, v8, -v0
	v_cvt_f32_f16_e32 v0, v0
	s_delay_alu instid0(VALU_DEP_1) | instskip(NEXT) | instid1(VALU_DEP_1)
	v_cvt_f64_f32_e32 v[0:1], v0
	v_mul_f64 v[6:7], v[0:1], s[10:11]
	s_delay_alu instid0(VALU_DEP_1) | instskip(SKIP_2) | instid1(VALU_DEP_3)
	v_and_or_b32 v0, 0x1ff, v7, v6
	v_lshrrev_b32_e32 v1, 8, v7
	v_bfe_u32 v13, v7, 20, 11
	v_cmp_ne_u32_e32 vcc_lo, 0, v0
	v_cndmask_b32_e64 v0, 0, 1, vcc_lo
	s_delay_alu instid0(VALU_DEP_1) | instskip(NEXT) | instid1(VALU_DEP_4)
	v_and_or_b32 v6, 0xffe, v1, v0
	v_sub_nc_u32_e32 v0, 0x3f1, v13
	s_delay_alu instid0(VALU_DEP_2) | instskip(NEXT) | instid1(VALU_DEP_2)
	v_or_b32_e32 v1, 0x1000, v6
	v_med3_i32 v0, v0, 0, 13
	s_delay_alu instid0(VALU_DEP_1) | instskip(NEXT) | instid1(VALU_DEP_1)
	v_lshrrev_b32_e32 v14, v0, v1
	v_lshlrev_b32_e32 v0, v0, v14
	s_delay_alu instid0(VALU_DEP_1) | instskip(SKIP_3) | instid1(VALU_DEP_1)
	v_cmp_ne_u32_e32 vcc_lo, v0, v1
	s_waitcnt vmcnt(9)
	v_mul_f16_e32 v0, v22, v11
	s_waitcnt vmcnt(8)
	v_fma_f16 v0, v25, v19, -v0
	v_mul_f16_e32 v19, v22, v19
	s_delay_alu instid0(VALU_DEP_2) | instskip(NEXT) | instid1(VALU_DEP_2)
	v_cvt_f32_f16_e32 v0, v0
	v_fmac_f16_e32 v19, v25, v11
	s_delay_alu instid0(VALU_DEP_2) | instskip(NEXT) | instid1(VALU_DEP_1)
	v_cvt_f64_f32_e32 v[0:1], v0
	v_mul_f64 v[1:2], v[0:1], s[10:11]
	s_delay_alu instid0(VALU_DEP_1) | instskip(SKIP_3) | instid1(VALU_DEP_4)
	v_and_or_b32 v0, 0x1ff, v2, v1
	v_lshrrev_b32_e32 v1, 8, v2
	v_bfe_u32 v9, v2, 20, 11
	v_lshrrev_b32_e32 v2, 16, v2
	v_cmp_ne_u32_e64 s0, 0, v0
	s_delay_alu instid0(VALU_DEP_1) | instskip(NEXT) | instid1(VALU_DEP_1)
	v_cndmask_b32_e64 v0, 0, 1, s0
	v_and_or_b32 v3, 0xffe, v1, v0
	v_sub_nc_u32_e32 v0, 0x3f1, v9
	v_add_nc_u32_e32 v9, 0xfffffc10, v9
	s_delay_alu instid0(VALU_DEP_3) | instskip(NEXT) | instid1(VALU_DEP_3)
	v_or_b32_e32 v1, 0x1000, v3
	v_med3_i32 v0, v0, 0, 13
	s_delay_alu instid0(VALU_DEP_3) | instskip(NEXT) | instid1(VALU_DEP_2)
	v_cmp_gt_i32_e64 s4, 1, v9
	v_lshrrev_b32_e32 v10, v0, v1
	s_delay_alu instid0(VALU_DEP_1) | instskip(NEXT) | instid1(VALU_DEP_1)
	v_lshlrev_b32_e32 v0, v0, v10
	v_cmp_ne_u32_e64 s0, v0, v1
	v_mul_f16_e32 v0, v15, v8
	s_clause 0x1
	scratch_load_b32 v8, off, off offset:228
	scratch_load_b32 v15, off, off offset:224
	v_lshrrev_b32_e32 v1, 16, v5
	v_fmac_f16_e32 v0, v16, v4
	s_delay_alu instid0(VALU_DEP_1) | instskip(SKIP_1) | instid1(VALU_DEP_3)
	v_cvt_f32_f16_e32 v0, v0
	s_waitcnt vmcnt(1)
	v_mul_f16_e32 v4, v8, v1
	v_mul_f16_e32 v8, v8, v5
	s_waitcnt vmcnt(0)
	s_delay_alu instid0(VALU_DEP_2) | instskip(NEXT) | instid1(VALU_DEP_2)
	v_fmac_f16_e32 v4, v15, v5
	v_fma_f16 v8, v15, v1, -v8
	v_cvt_f64_f32_e32 v[0:1], v0
	s_delay_alu instid0(VALU_DEP_3) | instskip(NEXT) | instid1(VALU_DEP_2)
	v_cvt_f32_f16_e32 v4, v4
	v_mul_f64 v[0:1], v[0:1], s[10:11]
	s_delay_alu instid0(VALU_DEP_1) | instskip(SKIP_1) | instid1(VALU_DEP_2)
	v_and_or_b32 v0, 0x1ff, v1, v0
	v_lshrrev_b32_e32 v5, 8, v1
	v_cmp_ne_u32_e64 s1, 0, v0
	s_delay_alu instid0(VALU_DEP_1) | instskip(NEXT) | instid1(VALU_DEP_1)
	v_cndmask_b32_e64 v0, 0, 1, s1
	v_and_or_b32 v0, 0xffe, v5, v0
	v_bfe_u32 v5, v1, 20, 11
	v_lshrrev_b32_e32 v1, 16, v1
	s_delay_alu instid0(VALU_DEP_3) | instskip(NEXT) | instid1(VALU_DEP_3)
	v_or_b32_e32 v16, 0x1000, v0
	v_sub_nc_u32_e32 v15, 0x3f1, v5
	v_add_nc_u32_e32 v5, 0xfffffc10, v5
	s_delay_alu instid0(VALU_DEP_2) | instskip(NEXT) | instid1(VALU_DEP_1)
	v_med3_i32 v15, v15, 0, 13
	v_lshrrev_b32_e32 v17, v15, v16
	s_delay_alu instid0(VALU_DEP_1) | instskip(NEXT) | instid1(VALU_DEP_1)
	v_lshlrev_b32_e32 v15, v15, v17
	v_cmp_ne_u32_e64 s1, v15, v16
	v_lshl_or_b32 v16, v5, 12, v0
	s_delay_alu instid0(VALU_DEP_2) | instskip(SKIP_1) | instid1(VALU_DEP_2)
	v_cndmask_b32_e64 v15, 0, 1, s1
	v_cmp_gt_i32_e64 s1, 1, v5
	v_or_b32_e32 v15, v17, v15
	s_delay_alu instid0(VALU_DEP_1) | instskip(NEXT) | instid1(VALU_DEP_1)
	v_cndmask_b32_e64 v15, v16, v15, s1
	v_and_b32_e32 v16, 7, v15
	s_delay_alu instid0(VALU_DEP_1) | instskip(SKIP_4) | instid1(VALU_DEP_4)
	v_cmp_lt_i32_e64 s1, 5, v16
	v_cmp_eq_u32_e64 s2, 3, v16
	v_cndmask_b32_e64 v16, 0, 1, vcc_lo
	v_cmp_ne_u32_e32 vcc_lo, 0, v0
	v_add_nc_u32_e32 v0, 0xfffffc10, v13
	s_or_b32 s1, s2, s1
	s_delay_alu instid0(VALU_DEP_3) | instskip(SKIP_1) | instid1(VALU_DEP_3)
	v_or_b32_e32 v14, v14, v16
	v_cmp_ne_u32_e64 s2, 0, v6
	v_lshl_or_b32 v13, v0, 12, v6
	v_cmp_gt_i32_e64 s3, 1, v0
	s_delay_alu instid0(VALU_DEP_1) | instskip(SKIP_3) | instid1(VALU_DEP_4)
	v_cndmask_b32_e64 v13, v13, v14, s3
	v_lshrrev_b32_e32 v14, 2, v15
	v_cndmask_b32_e64 v15, 0, 1, vcc_lo
	v_cmp_eq_u32_e32 vcc_lo, 0x40f, v5
	v_lshrrev_b32_e32 v6, 2, v13
	s_delay_alu instid0(VALU_DEP_4) | instskip(SKIP_2) | instid1(VALU_DEP_2)
	v_add_co_ci_u32_e64 v14, s1, 0, v14, s1
	v_cmp_gt_i32_e64 s1, 31, v5
	v_lshl_or_b32 v15, v15, 9, 0x7c00
	v_cndmask_b32_e64 v14, 0x7c00, v14, s1
	s_delay_alu instid0(VALU_DEP_1)
	v_dual_cndmask_b32 v5, v14, v15 :: v_dual_and_b32 v14, 7, v13
	v_cndmask_b32_e64 v13, 0, 1, s2
	ds_load_2addr_b32 v[15:16], v163 offset0:8 offset1:98
	v_and_or_b32 v1, 0x8000, v1, v5
	v_cmp_lt_i32_e32 vcc_lo, 5, v14
	v_cmp_eq_u32_e64 s1, 3, v14
	v_lshl_or_b32 v13, v13, 9, 0x7c00
	s_delay_alu instid0(VALU_DEP_4) | instskip(NEXT) | instid1(VALU_DEP_3)
	v_and_b32_e32 v1, 0xffff, v1
	s_or_b32 vcc_lo, s1, vcc_lo
	s_mul_i32 s1, s9, 0xe10
	v_add_co_ci_u32_e32 v6, vcc_lo, 0, v6, vcc_lo
	v_cmp_gt_i32_e32 vcc_lo, 31, v0
	s_add_i32 s7, s7, s1
	s_delay_alu instid0(VALU_DEP_2) | instskip(SKIP_1) | instid1(VALU_DEP_2)
	v_cndmask_b32_e32 v6, 0x7c00, v6, vcc_lo
	v_cmp_eq_u32_e32 vcc_lo, 0x40f, v0
	v_cndmask_b32_e32 v0, v6, v13, vcc_lo
	v_lshrrev_b32_e32 v6, 16, v7
	v_add_co_u32 v13, vcc_lo, v35, s12
	v_add_co_ci_u32_e32 v14, vcc_lo, s7, v36, vcc_lo
	s_delay_alu instid0(VALU_DEP_3)
	v_and_or_b32 v0, 0x8000, v6, v0
	s_waitcnt lgkmcnt(0)
	v_lshrrev_b32_e32 v6, 16, v15
	scratch_load_b32 v7, off, off offset:200 ; 4-byte Folded Reload
	v_lshl_or_b32 v0, v0, 16, v1
	global_store_b32 v[35:36], v0, off
	v_mul_f16_e32 v0, v23, v15
	s_delay_alu instid0(VALU_DEP_1) | instskip(NEXT) | instid1(VALU_DEP_1)
	v_fma_f16 v0, v24, v6, -v0
	v_cvt_f32_f16_e32 v0, v0
	s_delay_alu instid0(VALU_DEP_1) | instskip(NEXT) | instid1(VALU_DEP_1)
	v_cvt_f64_f32_e32 v[0:1], v0
	v_mul_f64 v[17:18], v[0:1], s[10:11]
	s_delay_alu instid0(VALU_DEP_1) | instskip(SKIP_2) | instid1(VALU_DEP_3)
	v_and_or_b32 v0, 0x1ff, v18, v17
	v_lshrrev_b32_e32 v1, 8, v18
	v_bfe_u32 v20, v18, 20, 11
	v_cmp_ne_u32_e32 vcc_lo, 0, v0
	v_cndmask_b32_e64 v0, 0, 1, vcc_lo
	s_delay_alu instid0(VALU_DEP_1) | instskip(NEXT) | instid1(VALU_DEP_4)
	v_and_or_b32 v17, 0xffe, v1, v0
	v_sub_nc_u32_e32 v0, 0x3f1, v20
	s_delay_alu instid0(VALU_DEP_2) | instskip(NEXT) | instid1(VALU_DEP_2)
	v_or_b32_e32 v1, 0x1000, v17
	v_med3_i32 v0, v0, 0, 13
	s_delay_alu instid0(VALU_DEP_1) | instskip(NEXT) | instid1(VALU_DEP_1)
	v_lshrrev_b32_e32 v21, v0, v1
	v_lshlrev_b32_e32 v0, v0, v21
	s_delay_alu instid0(VALU_DEP_1) | instskip(SKIP_3) | instid1(VALU_DEP_1)
	v_cmp_ne_u32_e64 s1, v0, v1
	scratch_load_b32 v1, off, off offset:212 ; 4-byte Folded Reload
	v_lshrrev_b32_e32 v0, 16, v12
	s_waitcnt vmcnt(0)
	v_mul_f16_e32 v5, v1, v0
	v_mul_f16_e32 v1, v1, v12
	s_delay_alu instid0(VALU_DEP_2) | instskip(NEXT) | instid1(VALU_DEP_2)
	v_fmac_f16_e32 v5, v7, v12
	v_fma_f16 v11, v7, v0, -v1
	v_cvt_f32_f16_e32 v0, v8
	s_delay_alu instid0(VALU_DEP_1) | instskip(NEXT) | instid1(VALU_DEP_1)
	v_cvt_f64_f32_e32 v[0:1], v0
	v_mul_f64 v[0:1], v[0:1], s[10:11]
	s_delay_alu instid0(VALU_DEP_1) | instskip(SKIP_1) | instid1(VALU_DEP_2)
	v_and_or_b32 v0, 0x1ff, v1, v0
	v_lshrrev_b32_e32 v7, 8, v1
	v_cmp_ne_u32_e32 vcc_lo, 0, v0
	v_cndmask_b32_e64 v0, 0, 1, vcc_lo
	s_delay_alu instid0(VALU_DEP_1) | instskip(SKIP_2) | instid1(VALU_DEP_3)
	v_and_or_b32 v0, 0xffe, v7, v0
	v_bfe_u32 v7, v1, 20, 11
	v_lshrrev_b32_e32 v1, 16, v1
	v_or_b32_e32 v22, 0x1000, v0
	s_delay_alu instid0(VALU_DEP_3) | instskip(NEXT) | instid1(VALU_DEP_1)
	v_sub_nc_u32_e32 v8, 0x3f1, v7
	v_med3_i32 v12, v8, 0, 13
	s_delay_alu instid0(VALU_DEP_1) | instskip(NEXT) | instid1(VALU_DEP_1)
	v_lshrrev_b32_e32 v8, v12, v22
	v_lshlrev_b32_e32 v12, v12, v8
	s_delay_alu instid0(VALU_DEP_1) | instskip(SKIP_2) | instid1(VALU_DEP_2)
	v_cmp_ne_u32_e32 vcc_lo, v12, v22
	v_mul_f16_e32 v12, v23, v6
	v_lshrrev_b32_e32 v22, 16, v16
	v_fmac_f16_e32 v12, v24, v15
	scratch_load_b32 v15, off, off offset:196 ; 4-byte Folded Reload
	s_waitcnt vmcnt(0)
	v_mul_f16_e32 v6, v15, v22
	v_mul_f16_e32 v23, v15, v16
	v_cvt_f32_f16_e32 v15, v19
	s_delay_alu instid0(VALU_DEP_3) | instskip(NEXT) | instid1(VALU_DEP_2)
	v_fmac_f16_e32 v6, v27, v16
	v_cvt_f64_f32_e32 v[15:16], v15
	s_delay_alu instid0(VALU_DEP_2) | instskip(NEXT) | instid1(VALU_DEP_2)
	v_cvt_f32_f16_e32 v6, v6
	v_mul_f64 v[15:16], v[15:16], s[10:11]
	s_delay_alu instid0(VALU_DEP_1) | instskip(SKIP_1) | instid1(VALU_DEP_2)
	v_and_or_b32 v15, 0x1ff, v16, v15
	v_lshrrev_b32_e32 v19, 8, v16
	v_cmp_ne_u32_e64 s2, 0, v15
	s_delay_alu instid0(VALU_DEP_1) | instskip(NEXT) | instid1(VALU_DEP_1)
	v_cndmask_b32_e64 v15, 0, 1, s2
	v_and_or_b32 v15, 0xffe, v19, v15
	v_bfe_u32 v19, v16, 20, 11
	v_lshrrev_b32_e32 v16, 16, v16
	s_delay_alu instid0(VALU_DEP_3) | instskip(NEXT) | instid1(VALU_DEP_3)
	v_or_b32_e32 v25, 0x1000, v15
	v_sub_nc_u32_e32 v24, 0x3f1, v19
	v_add_nc_u32_e32 v19, 0xfffffc10, v19
	s_delay_alu instid0(VALU_DEP_2) | instskip(NEXT) | instid1(VALU_DEP_1)
	v_med3_i32 v24, v24, 0, 13
	v_lshrrev_b32_e32 v26, v24, v25
	s_delay_alu instid0(VALU_DEP_1) | instskip(NEXT) | instid1(VALU_DEP_1)
	v_lshlrev_b32_e32 v24, v24, v26
	v_cmp_ne_u32_e64 s2, v24, v25
	v_lshl_or_b32 v25, v19, 12, v15
	s_delay_alu instid0(VALU_DEP_2) | instskip(SKIP_1) | instid1(VALU_DEP_2)
	v_cndmask_b32_e64 v24, 0, 1, s2
	v_cmp_gt_i32_e64 s2, 1, v19
	v_or_b32_e32 v24, v26, v24
	scratch_load_b32 v26, off, off offset:176 ; 4-byte Folded Reload
	v_cndmask_b32_e64 v24, v25, v24, s2
	s_delay_alu instid0(VALU_DEP_1) | instskip(NEXT) | instid1(VALU_DEP_1)
	v_and_b32_e32 v25, 7, v24
	v_cmp_lt_i32_e64 s2, 5, v25
	v_cmp_eq_u32_e64 s3, 3, v25
	v_cndmask_b32_e64 v25, 0, 1, s0
	v_cmp_ne_u32_e64 s0, 0, v15
	v_lshl_or_b32 v15, v9, 12, v3
	s_delay_alu instid0(VALU_DEP_4) | instskip(NEXT) | instid1(VALU_DEP_3)
	s_or_b32 s2, s3, s2
	v_or_b32_e32 v10, v10, v25
	v_cmp_ne_u32_e64 s3, 0, v3
	scratch_load_b32 v25, off, off offset:188 ; 4-byte Folded Reload
	v_cndmask_b32_e64 v10, v15, v10, s4
	v_lshrrev_b32_e32 v15, 2, v24
	v_cndmask_b32_e64 v24, 0, 1, s0
	v_cmp_eq_u32_e64 s0, 0x40f, v19
	s_delay_alu instid0(VALU_DEP_4) | instskip(NEXT) | instid1(VALU_DEP_4)
	v_lshrrev_b32_e32 v3, 2, v10
	v_add_co_ci_u32_e64 v15, s2, 0, v15, s2
	v_cmp_gt_i32_e64 s2, 31, v19
	v_lshl_or_b32 v24, v24, 9, 0x7c00
	v_and_b32_e32 v19, 7, v10
	v_cndmask_b32_e64 v10, 0, 1, s3
	s_delay_alu instid0(VALU_DEP_4) | instskip(NEXT) | instid1(VALU_DEP_3)
	v_cndmask_b32_e64 v15, 0x7c00, v15, s2
	v_cmp_eq_u32_e64 s2, 3, v19
	s_delay_alu instid0(VALU_DEP_3) | instskip(NEXT) | instid1(VALU_DEP_3)
	v_lshl_or_b32 v10, v10, 9, 0x7c00
	v_cndmask_b32_e64 v15, v15, v24, s0
	v_cmp_lt_i32_e64 s0, 5, v19
	scratch_load_b32 v24, off, off offset:184 ; 4-byte Folded Reload
	s_or_b32 s0, s2, s0
	s_delay_alu instid0(SALU_CYCLE_1) | instskip(SKIP_1) | instid1(VALU_DEP_1)
	v_add_co_ci_u32_e64 v3, s0, 0, v3, s0
	v_cmp_gt_i32_e64 s0, 31, v9
	v_cndmask_b32_e64 v3, 0x7c00, v3, s0
	v_cmp_eq_u32_e64 s0, 0x40f, v9
	v_and_or_b32 v9, 0x8000, v16, v15
	s_delay_alu instid0(VALU_DEP_2) | instskip(NEXT) | instid1(VALU_DEP_1)
	v_cndmask_b32_e64 v3, v3, v10, s0
	v_and_or_b32 v2, 0x8000, v2, v3
	s_delay_alu instid0(VALU_DEP_3) | instskip(SKIP_1) | instid1(VALU_DEP_2)
	v_and_b32_e32 v3, 0xffff, v9
	v_cvt_f32_f16_e32 v9, v12
	v_lshl_or_b32 v2, v2, 16, v3
	s_delay_alu instid0(VALU_DEP_2) | instskip(SKIP_2) | instid1(VALU_DEP_1)
	v_cvt_f64_f32_e32 v[9:10], v9
	global_store_b32 v[13:14], v2, off
	v_add_co_u32 v2, s0, v13, s12
	v_add_co_ci_u32_e64 v3, s0, s7, v14, s0
	v_fma_f16 v14, v27, v22, -v23
	scratch_load_b32 v27, off, off offset:180 ; 4-byte Folded Reload
	v_mul_f64 v[9:10], v[9:10], s[10:11]
	s_delay_alu instid0(VALU_DEP_1) | instskip(SKIP_1) | instid1(VALU_DEP_2)
	v_and_or_b32 v9, 0x1ff, v10, v9
	v_lshrrev_b32_e32 v12, 8, v10
	v_cmp_ne_u32_e64 s0, 0, v9
	s_delay_alu instid0(VALU_DEP_1) | instskip(NEXT) | instid1(VALU_DEP_1)
	v_cndmask_b32_e64 v9, 0, 1, s0
	v_and_or_b32 v9, 0xffe, v12, v9
	v_bfe_u32 v12, v10, 20, 11
	v_lshrrev_b32_e32 v10, 16, v10
	s_delay_alu instid0(VALU_DEP_3) | instskip(NEXT) | instid1(VALU_DEP_3)
	v_or_b32_e32 v15, 0x1000, v9
	v_sub_nc_u32_e32 v13, 0x3f1, v12
	v_add_nc_u32_e32 v12, 0xfffffc10, v12
	v_cmp_ne_u32_e64 s2, 0, v9
	s_delay_alu instid0(VALU_DEP_3) | instskip(NEXT) | instid1(VALU_DEP_1)
	v_med3_i32 v13, v13, 0, 13
	v_lshrrev_b32_e32 v16, v13, v15
	s_delay_alu instid0(VALU_DEP_1) | instskip(NEXT) | instid1(VALU_DEP_1)
	v_lshlrev_b32_e32 v13, v13, v16
	v_cmp_ne_u32_e64 s0, v13, v15
	v_lshl_or_b32 v15, v12, 12, v9
	s_delay_alu instid0(VALU_DEP_2) | instskip(SKIP_1) | instid1(VALU_DEP_2)
	v_cndmask_b32_e64 v13, 0, 1, s0
	v_cmp_gt_i32_e64 s0, 1, v12
	v_or_b32_e32 v13, v16, v13
	v_add_nc_u32_e32 v16, 0xfffffc10, v20
	s_delay_alu instid0(VALU_DEP_2) | instskip(SKIP_1) | instid1(VALU_DEP_3)
	v_cndmask_b32_e64 v13, v15, v13, s0
	v_cndmask_b32_e64 v15, 0, 1, s1
	v_lshl_or_b32 v19, v16, 12, v17
	v_cmp_gt_i32_e64 s0, 1, v16
	s_delay_alu instid0(VALU_DEP_3) | instskip(NEXT) | instid1(VALU_DEP_1)
	v_or_b32_e32 v15, v21, v15
	v_cndmask_b32_e64 v15, v19, v15, s0
	v_and_b32_e32 v19, 7, v13
	s_delay_alu instid0(VALU_DEP_2) | instskip(NEXT) | instid1(VALU_DEP_2)
	v_and_b32_e32 v9, 7, v15
	v_cmp_lt_i32_e64 s0, 5, v19
	v_cmp_eq_u32_e64 s1, 3, v19
	s_delay_alu instid0(VALU_DEP_3) | instskip(SKIP_2) | instid1(VALU_DEP_4)
	v_cmp_lt_i32_e64 s3, 5, v9
	v_cmp_eq_u32_e64 s4, 3, v9
	v_lshrrev_b32_e32 v9, 2, v13
	s_or_b32 s0, s1, s0
	v_cndmask_b32_e64 v13, 0, 1, s2
	s_delay_alu instid0(VALU_DEP_3) | instskip(NEXT) | instid1(VALU_DEP_2)
	s_or_b32 s1, s4, s3
	v_add_co_ci_u32_e64 v9, s0, 0, v9, s0
	v_cmp_gt_i32_e64 s0, 31, v12
	s_delay_alu instid0(VALU_DEP_3) | instskip(NEXT) | instid1(VALU_DEP_2)
	v_lshl_or_b32 v13, v13, 9, 0x7c00
	v_cndmask_b32_e64 v9, 0x7c00, v9, s0
	v_cmp_eq_u32_e64 s0, 0x40f, v12
	v_lshrrev_b32_e32 v12, 2, v15
	s_delay_alu instid0(VALU_DEP_2) | instskip(SKIP_1) | instid1(VALU_DEP_3)
	v_cndmask_b32_e64 v9, v9, v13, s0
	v_cmp_ne_u32_e64 s0, 0, v17
	v_add_co_ci_u32_e64 v12, s1, 0, v12, s1
	v_cmp_gt_i32_e64 s1, 31, v16
	s_delay_alu instid0(VALU_DEP_4) | instskip(NEXT) | instid1(VALU_DEP_4)
	v_and_or_b32 v9, 0x8000, v10, v9
	v_cndmask_b32_e64 v13, 0, 1, s0
	v_cmp_eq_u32_e64 s0, 0x40f, v16
	s_delay_alu instid0(VALU_DEP_4) | instskip(NEXT) | instid1(VALU_DEP_4)
	v_cndmask_b32_e64 v12, 0x7c00, v12, s1
	v_and_b32_e32 v9, 0xffff, v9
	s_delay_alu instid0(VALU_DEP_4) | instskip(SKIP_1) | instid1(VALU_DEP_1)
	v_lshl_or_b32 v13, v13, 9, 0x7c00
	s_mul_i32 s1, s9, 0xffffe548
	v_cndmask_b32_e64 v12, v12, v13, s0
	v_lshrrev_b32_e32 v13, 16, v18
	s_mul_hi_u32 s0, s8, 0xffffe548
	s_delay_alu instid0(SALU_CYCLE_1) | instskip(SKIP_1) | instid1(VALU_DEP_1)
	s_sub_i32 s9, s0, s8
	s_mulk_i32 s8, 0xe548
	v_and_or_b32 v10, 0x8000, v13, v12
	v_add_co_u32 v12, s0, v2, s8
	s_add_i32 s9, s9, s1
	s_delay_alu instid0(VALU_DEP_2) | instskip(SKIP_3) | instid1(VALU_DEP_1)
	v_lshl_or_b32 v9, v10, 16, v9
	v_add_co_ci_u32_e64 v13, s0, s9, v3, s0
	global_store_b32 v[2:3], v9, off
	v_cvt_f32_f16_e32 v2, v11
	v_cvt_f64_f32_e32 v[2:3], v2
	s_delay_alu instid0(VALU_DEP_1) | instskip(NEXT) | instid1(VALU_DEP_1)
	v_mul_f64 v[10:11], v[2:3], s[10:11]
	v_and_or_b32 v2, 0x1ff, v11, v10
	v_lshrrev_b32_e32 v3, 8, v11
	v_bfe_u32 v17, v11, 20, 11
	v_lshrrev_b32_e32 v11, 16, v11
	s_delay_alu instid0(VALU_DEP_4) | instskip(NEXT) | instid1(VALU_DEP_1)
	v_cmp_ne_u32_e64 s0, 0, v2
	v_cndmask_b32_e64 v2, 0, 1, s0
	s_delay_alu instid0(VALU_DEP_1) | instskip(SKIP_1) | instid1(VALU_DEP_2)
	v_and_or_b32 v16, 0xffe, v3, v2
	v_sub_nc_u32_e32 v2, 0x3f1, v17
	v_or_b32_e32 v3, 0x1000, v16
	s_delay_alu instid0(VALU_DEP_2) | instskip(NEXT) | instid1(VALU_DEP_1)
	v_med3_i32 v2, v2, 0, 13
	v_lshrrev_b32_e32 v18, v2, v3
	s_delay_alu instid0(VALU_DEP_1) | instskip(NEXT) | instid1(VALU_DEP_1)
	v_lshlrev_b32_e32 v2, v2, v18
	v_cmp_ne_u32_e64 s1, v2, v3
	v_cvt_f32_f16_e32 v2, v14
	s_delay_alu instid0(VALU_DEP_1) | instskip(NEXT) | instid1(VALU_DEP_1)
	v_cvt_f64_f32_e32 v[2:3], v2
	v_mul_f64 v[2:3], v[2:3], s[10:11]
	s_delay_alu instid0(VALU_DEP_1) | instskip(SKIP_1) | instid1(VALU_DEP_2)
	v_and_or_b32 v2, 0x1ff, v3, v2
	v_lshrrev_b32_e32 v9, 8, v3
	v_cmp_ne_u32_e64 s0, 0, v2
	s_delay_alu instid0(VALU_DEP_1) | instskip(NEXT) | instid1(VALU_DEP_1)
	v_cndmask_b32_e64 v2, 0, 1, s0
	v_and_or_b32 v2, 0xffe, v9, v2
	v_bfe_u32 v9, v3, 20, 11
	v_lshrrev_b32_e32 v3, 16, v3
	s_delay_alu instid0(VALU_DEP_3) | instskip(NEXT) | instid1(VALU_DEP_3)
	v_or_b32_e32 v15, 0x1000, v2
	v_sub_nc_u32_e32 v10, 0x3f1, v9
	v_add_nc_u32_e32 v9, 0xfffffc10, v9
	s_delay_alu instid0(VALU_DEP_2) | instskip(NEXT) | instid1(VALU_DEP_1)
	v_med3_i32 v14, v10, 0, 13
	v_lshrrev_b32_e32 v10, v14, v15
	s_delay_alu instid0(VALU_DEP_1) | instskip(NEXT) | instid1(VALU_DEP_1)
	v_lshlrev_b32_e32 v14, v14, v10
	v_cmp_ne_u32_e64 s0, v14, v15
	v_cvt_f64_f32_e32 v[14:15], v4
	s_delay_alu instid0(VALU_DEP_1) | instskip(NEXT) | instid1(VALU_DEP_1)
	v_mul_f64 v[14:15], v[14:15], s[10:11]
	v_and_or_b32 v4, 0x1ff, v15, v14
	v_lshrrev_b32_e32 v14, 8, v15
	s_delay_alu instid0(VALU_DEP_2) | instskip(NEXT) | instid1(VALU_DEP_1)
	v_cmp_ne_u32_e64 s2, 0, v4
	v_cndmask_b32_e64 v4, 0, 1, s2
	s_delay_alu instid0(VALU_DEP_1) | instskip(SKIP_1) | instid1(VALU_DEP_2)
	v_and_or_b32 v4, 0xffe, v14, v4
	v_bfe_u32 v14, v15, 20, 11
	v_or_b32_e32 v20, 0x1000, v4
	s_delay_alu instid0(VALU_DEP_2) | instskip(SKIP_1) | instid1(VALU_DEP_2)
	v_sub_nc_u32_e32 v19, 0x3f1, v14
	v_add_nc_u32_e32 v14, 0xfffffc10, v14
	v_med3_i32 v19, v19, 0, 13
	s_delay_alu instid0(VALU_DEP_1) | instskip(NEXT) | instid1(VALU_DEP_1)
	v_lshrrev_b32_e32 v21, v19, v20
	v_lshlrev_b32_e32 v19, v19, v21
	s_delay_alu instid0(VALU_DEP_1) | instskip(SKIP_1) | instid1(VALU_DEP_2)
	v_cmp_ne_u32_e64 s2, v19, v20
	v_lshl_or_b32 v20, v14, 12, v4
	v_cndmask_b32_e64 v19, 0, 1, s2
	v_cmp_gt_i32_e64 s2, 1, v14
	s_delay_alu instid0(VALU_DEP_2) | instskip(NEXT) | instid1(VALU_DEP_1)
	v_or_b32_e32 v19, v21, v19
	v_cndmask_b32_e64 v19, v20, v19, s2
	s_delay_alu instid0(VALU_DEP_1) | instskip(NEXT) | instid1(VALU_DEP_1)
	v_and_b32_e32 v20, 7, v19
	v_cmp_lt_i32_e64 s2, 5, v20
	v_cmp_eq_u32_e64 s3, 3, v20
	v_cndmask_b32_e64 v20, 0, 1, vcc_lo
	v_cmp_ne_u32_e32 vcc_lo, 0, v4
	v_add_nc_u32_e32 v4, 0xfffffc10, v7
	s_delay_alu instid0(VALU_DEP_4) | instskip(NEXT) | instid1(VALU_DEP_3)
	s_or_b32 s2, s3, s2
	v_or_b32_e32 v8, v8, v20
	v_cmp_ne_u32_e64 s3, 0, v0
	s_delay_alu instid0(VALU_DEP_3) | instskip(SKIP_1) | instid1(VALU_DEP_1)
	v_lshl_or_b32 v7, v4, 12, v0
	v_cmp_gt_i32_e64 s4, 1, v4
	v_cndmask_b32_e64 v7, v7, v8, s4
	v_lshrrev_b32_e32 v8, 2, v19
	v_cndmask_b32_e64 v19, 0, 1, vcc_lo
	v_cmp_eq_u32_e32 vcc_lo, 0x40f, v14
	s_delay_alu instid0(VALU_DEP_4) | instskip(NEXT) | instid1(VALU_DEP_4)
	v_lshrrev_b32_e32 v0, 2, v7
	v_add_co_ci_u32_e64 v8, s2, 0, v8, s2
	v_cmp_gt_i32_e64 s2, 31, v14
	v_lshl_or_b32 v19, v19, 9, 0x7c00
	v_lshrrev_b32_e32 v14, 16, v15
	v_and_b32_e32 v15, 7, v7
	v_cndmask_b32_e64 v7, 0, 1, s3
	v_cndmask_b32_e64 v8, 0x7c00, v8, s2
	s_delay_alu instid0(VALU_DEP_3) | instskip(NEXT) | instid1(VALU_DEP_3)
	v_cmp_eq_u32_e64 s2, 3, v15
	v_lshl_or_b32 v7, v7, 9, 0x7c00
	s_delay_alu instid0(VALU_DEP_3) | instskip(SKIP_1) | instid1(VALU_DEP_4)
	v_cndmask_b32_e32 v8, v8, v19, vcc_lo
	v_cmp_lt_i32_e32 vcc_lo, 5, v15
	s_or_b32 vcc_lo, s2, vcc_lo
	v_add_co_ci_u32_e32 v0, vcc_lo, 0, v0, vcc_lo
	v_cmp_gt_i32_e32 vcc_lo, 31, v4
	s_delay_alu instid0(VALU_DEP_2) | instskip(SKIP_4) | instid1(VALU_DEP_1)
	v_cndmask_b32_e32 v0, 0x7c00, v0, vcc_lo
	v_cmp_eq_u32_e32 vcc_lo, 0x40f, v4
	v_and_or_b32 v4, 0x8000, v14, v8
	ds_load_2addr_b32 v[14:15], v255 offset0:52 offset1:142
	v_cndmask_b32_e32 v0, v0, v7, vcc_lo
	v_and_or_b32 v0, 0x8000, v1, v0
	v_and_b32_e32 v1, 0xffff, v4
	s_delay_alu instid0(VALU_DEP_1)
	v_lshl_or_b32 v0, v0, 16, v1
	global_store_b32 v[12:13], v0, off
	s_waitcnt lgkmcnt(0)
	v_lshrrev_b32_e32 v20, 16, v14
	s_waitcnt vmcnt(2)
	v_mul_f16_e32 v0, v25, v14
	v_add_co_u32 v12, vcc_lo, v12, s12
	v_add_co_ci_u32_e32 v13, vcc_lo, s7, v13, vcc_lo
	s_waitcnt vmcnt(1)
	s_delay_alu instid0(VALU_DEP_3) | instskip(SKIP_1) | instid1(VALU_DEP_2)
	v_fma_f16 v0, v24, v20, -v0
	v_mul_f16_e32 v20, v25, v20
	v_cvt_f32_f16_e32 v0, v0
	s_delay_alu instid0(VALU_DEP_2) | instskip(SKIP_1) | instid1(VALU_DEP_3)
	v_fmac_f16_e32 v20, v24, v14
	v_lshrrev_b32_e32 v14, 16, v15
	v_cvt_f64_f32_e32 v[0:1], v0
	s_delay_alu instid0(VALU_DEP_1) | instskip(NEXT) | instid1(VALU_DEP_1)
	v_mul_f64 v[0:1], v[0:1], s[10:11]
	v_and_or_b32 v0, 0x1ff, v1, v0
	v_lshrrev_b32_e32 v4, 8, v1
	v_bfe_u32 v7, v1, 20, 11
	v_lshrrev_b32_e32 v1, 16, v1
	s_delay_alu instid0(VALU_DEP_4) | instskip(SKIP_1) | instid1(VALU_DEP_1)
	v_cmp_ne_u32_e32 vcc_lo, 0, v0
	v_cndmask_b32_e64 v0, 0, 1, vcc_lo
	v_and_or_b32 v0, 0xffe, v4, v0
	v_sub_nc_u32_e32 v4, 0x3f1, v7
	v_add_nc_u32_e32 v7, 0xfffffc10, v7
	s_delay_alu instid0(VALU_DEP_3) | instskip(NEXT) | instid1(VALU_DEP_3)
	v_or_b32_e32 v19, 0x1000, v0
	v_med3_i32 v4, v4, 0, 13
	s_delay_alu instid0(VALU_DEP_1) | instskip(NEXT) | instid1(VALU_DEP_1)
	v_lshrrev_b32_e32 v8, v4, v19
	v_lshlrev_b32_e32 v4, v4, v8
	s_delay_alu instid0(VALU_DEP_1) | instskip(SKIP_1) | instid1(VALU_DEP_1)
	v_cmp_ne_u32_e32 vcc_lo, v4, v19
	v_cvt_f32_f16_e32 v4, v5
	v_cvt_f64_f32_e32 v[4:5], v4
	s_delay_alu instid0(VALU_DEP_1) | instskip(NEXT) | instid1(VALU_DEP_1)
	v_mul_f64 v[4:5], v[4:5], s[10:11]
	v_and_or_b32 v4, 0x1ff, v5, v4
	v_lshrrev_b32_e32 v19, 8, v5
	s_delay_alu instid0(VALU_DEP_2) | instskip(NEXT) | instid1(VALU_DEP_1)
	v_cmp_ne_u32_e64 s2, 0, v4
	v_cndmask_b32_e64 v4, 0, 1, s2
	s_delay_alu instid0(VALU_DEP_1) | instskip(SKIP_2) | instid1(VALU_DEP_3)
	v_and_or_b32 v4, 0xffe, v19, v4
	v_bfe_u32 v19, v5, 20, 11
	v_lshrrev_b32_e32 v5, 16, v5
	v_or_b32_e32 v22, 0x1000, v4
	s_delay_alu instid0(VALU_DEP_3) | instskip(SKIP_1) | instid1(VALU_DEP_2)
	v_sub_nc_u32_e32 v21, 0x3f1, v19
	v_add_nc_u32_e32 v19, 0xfffffc10, v19
	v_med3_i32 v21, v21, 0, 13
	s_delay_alu instid0(VALU_DEP_1) | instskip(NEXT) | instid1(VALU_DEP_1)
	v_lshrrev_b32_e32 v23, v21, v22
	v_lshlrev_b32_e32 v21, v21, v23
	s_delay_alu instid0(VALU_DEP_1) | instskip(SKIP_1) | instid1(VALU_DEP_2)
	v_cmp_ne_u32_e64 s2, v21, v22
	v_lshl_or_b32 v22, v19, 12, v4
	v_cndmask_b32_e64 v21, 0, 1, s2
	v_cmp_gt_i32_e64 s2, 1, v19
	s_delay_alu instid0(VALU_DEP_2) | instskip(SKIP_2) | instid1(VALU_DEP_1)
	v_or_b32_e32 v21, v23, v21
	scratch_load_b32 v23, off, off offset:168 ; 4-byte Folded Reload
	v_cndmask_b32_e64 v21, v22, v21, s2
	v_and_b32_e32 v22, 7, v21
	s_delay_alu instid0(VALU_DEP_1) | instskip(SKIP_4) | instid1(VALU_DEP_4)
	v_cmp_lt_i32_e64 s2, 5, v22
	v_cmp_eq_u32_e64 s3, 3, v22
	v_cndmask_b32_e64 v22, 0, 1, s1
	v_cmp_ne_u32_e64 s1, 0, v4
	v_add_nc_u32_e32 v4, 0xfffffc10, v17
	s_or_b32 s2, s3, s2
	s_delay_alu instid0(VALU_DEP_3) | instskip(SKIP_1) | instid1(VALU_DEP_3)
	v_or_b32_e32 v18, v18, v22
	v_cmp_ne_u32_e64 s3, 0, v16
	v_lshl_or_b32 v17, v4, 12, v16
	v_cmp_gt_i32_e64 s4, 1, v4
	s_delay_alu instid0(VALU_DEP_1) | instskip(SKIP_3) | instid1(VALU_DEP_4)
	v_cndmask_b32_e64 v17, v17, v18, s4
	v_lshrrev_b32_e32 v18, 2, v21
	v_cndmask_b32_e64 v21, 0, 1, s1
	v_cmp_eq_u32_e64 s1, 0x40f, v19
	v_lshrrev_b32_e32 v16, 2, v17
	s_delay_alu instid0(VALU_DEP_4) | instskip(SKIP_4) | instid1(VALU_DEP_4)
	v_add_co_ci_u32_e64 v18, s2, 0, v18, s2
	v_cmp_gt_i32_e64 s2, 31, v19
	v_lshl_or_b32 v21, v21, 9, 0x7c00
	v_and_b32_e32 v19, 7, v17
	v_cndmask_b32_e64 v17, 0, 1, s3
	v_cndmask_b32_e64 v18, 0x7c00, v18, s2
	s_delay_alu instid0(VALU_DEP_3) | instskip(NEXT) | instid1(VALU_DEP_3)
	v_cmp_eq_u32_e64 s2, 3, v19
	v_lshl_or_b32 v17, v17, 9, 0x7c00
	s_delay_alu instid0(VALU_DEP_3) | instskip(SKIP_1) | instid1(VALU_DEP_2)
	v_cndmask_b32_e64 v18, v18, v21, s1
	v_cmp_lt_i32_e64 s1, 5, v19
	v_and_or_b32 v5, 0x8000, v5, v18
	s_delay_alu instid0(VALU_DEP_2) | instskip(SKIP_4) | instid1(VALU_DEP_2)
	s_or_b32 s1, s2, s1
	ds_load_2addr_b32 v[18:19], v128 offset0:56 offset1:146
	v_add_co_ci_u32_e64 v16, s1, 0, v16, s1
	v_cmp_gt_i32_e64 s1, 31, v4
	v_and_b32_e32 v5, 0xffff, v5
	v_cndmask_b32_e64 v16, 0x7c00, v16, s1
	v_cmp_eq_u32_e64 s1, 0x40f, v4
	s_delay_alu instid0(VALU_DEP_1) | instskip(SKIP_1) | instid1(VALU_DEP_1)
	v_cndmask_b32_e64 v4, v16, v17, s1
	v_add_co_u32 v16, s1, v12, s12
	v_add_co_ci_u32_e64 v17, s1, s7, v13, s1
	s_delay_alu instid0(VALU_DEP_3) | instskip(SKIP_2) | instid1(VALU_DEP_2)
	v_and_or_b32 v4, 0x8000, v11, v4
	s_waitcnt lgkmcnt(0)
	v_lshrrev_b32_e32 v21, 16, v18
	v_lshl_or_b32 v4, v4, 16, v5
	global_store_b32 v[12:13], v4, off
	s_waitcnt vmcnt(1)
	v_mul_f16_e32 v4, v27, v18
	s_delay_alu instid0(VALU_DEP_1) | instskip(SKIP_1) | instid1(VALU_DEP_2)
	v_fma_f16 v4, v26, v21, -v4
	v_mul_f16_e32 v21, v27, v21
	v_cvt_f32_f16_e32 v4, v4
	s_delay_alu instid0(VALU_DEP_2) | instskip(SKIP_2) | instid1(VALU_DEP_1)
	v_fmac_f16_e32 v21, v26, v18
	scratch_load_b32 v18, off, off offset:152 ; 4-byte Folded Reload
	v_cvt_f64_f32_e32 v[4:5], v4
	v_mul_f64 v[4:5], v[4:5], s[10:11]
	s_delay_alu instid0(VALU_DEP_1) | instskip(SKIP_3) | instid1(VALU_DEP_4)
	v_and_or_b32 v4, 0x1ff, v5, v4
	v_lshrrev_b32_e32 v11, 8, v5
	v_bfe_u32 v12, v5, 20, 11
	v_lshrrev_b32_e32 v5, 16, v5
	v_cmp_ne_u32_e64 s1, 0, v4
	s_delay_alu instid0(VALU_DEP_1) | instskip(NEXT) | instid1(VALU_DEP_1)
	v_cndmask_b32_e64 v4, 0, 1, s1
	v_and_or_b32 v11, 0xffe, v11, v4
	v_sub_nc_u32_e32 v4, 0x3f1, v12
	v_add_nc_u32_e32 v12, 0xfffffc10, v12
	s_delay_alu instid0(VALU_DEP_3) | instskip(NEXT) | instid1(VALU_DEP_3)
	v_or_b32_e32 v22, 0x1000, v11
	v_med3_i32 v4, v4, 0, 13
	s_delay_alu instid0(VALU_DEP_1) | instskip(NEXT) | instid1(VALU_DEP_1)
	v_lshrrev_b32_e32 v13, v4, v22
	v_lshlrev_b32_e32 v4, v4, v13
	s_delay_alu instid0(VALU_DEP_1) | instskip(SKIP_4) | instid1(VALU_DEP_2)
	v_cmp_ne_u32_e64 s1, v4, v22
	scratch_load_b32 v22, off, off offset:172 ; 4-byte Folded Reload
	s_waitcnt vmcnt(0)
	v_mul_f16_e32 v4, v22, v14
	v_mul_f16_e32 v22, v22, v15
	v_fmac_f16_e32 v4, v23, v15
	s_delay_alu instid0(VALU_DEP_2) | instskip(SKIP_1) | instid1(VALU_DEP_3)
	v_fma_f16 v22, v23, v14, -v22
	v_cvt_f64_f32_e32 v[14:15], v6
	v_cvt_f32_f16_e32 v4, v4
	s_delay_alu instid0(VALU_DEP_2) | instskip(NEXT) | instid1(VALU_DEP_1)
	v_mul_f64 v[14:15], v[14:15], s[10:11]
	v_and_or_b32 v6, 0x1ff, v15, v14
	v_lshrrev_b32_e32 v14, 8, v15
	s_delay_alu instid0(VALU_DEP_2) | instskip(NEXT) | instid1(VALU_DEP_1)
	v_cmp_ne_u32_e64 s2, 0, v6
	v_cndmask_b32_e64 v6, 0, 1, s2
	s_delay_alu instid0(VALU_DEP_1) | instskip(SKIP_1) | instid1(VALU_DEP_2)
	v_and_or_b32 v6, 0xffe, v14, v6
	v_bfe_u32 v14, v15, 20, 11
	v_or_b32_e32 v24, 0x1000, v6
	s_delay_alu instid0(VALU_DEP_2) | instskip(SKIP_2) | instid1(VALU_DEP_3)
	v_sub_nc_u32_e32 v23, 0x3f1, v14
	v_add_nc_u32_e32 v14, 0xfffffc10, v14
	v_cmp_ne_u32_e64 s3, 0, v6
	v_med3_i32 v23, v23, 0, 13
	s_delay_alu instid0(VALU_DEP_1) | instskip(NEXT) | instid1(VALU_DEP_1)
	v_lshrrev_b32_e32 v25, v23, v24
	v_lshlrev_b32_e32 v23, v23, v25
	s_delay_alu instid0(VALU_DEP_1) | instskip(SKIP_1) | instid1(VALU_DEP_2)
	v_cmp_ne_u32_e64 s2, v23, v24
	v_lshl_or_b32 v24, v14, 12, v6
	v_cndmask_b32_e64 v23, 0, 1, s2
	v_cmp_gt_i32_e64 s2, 1, v14
	s_delay_alu instid0(VALU_DEP_2) | instskip(NEXT) | instid1(VALU_DEP_1)
	v_or_b32_e32 v23, v25, v23
	v_cndmask_b32_e64 v23, v24, v23, s2
	v_cndmask_b32_e64 v24, 0, 1, s0
	v_cmp_gt_i32_e64 s0, 1, v9
	s_delay_alu instid0(VALU_DEP_2) | instskip(SKIP_1) | instid1(VALU_DEP_1)
	v_or_b32_e32 v10, v10, v24
	v_lshl_or_b32 v24, v9, 12, v2
	v_cndmask_b32_e64 v10, v24, v10, s0
	v_and_b32_e32 v24, 7, v23
	s_delay_alu instid0(VALU_DEP_2) | instskip(NEXT) | instid1(VALU_DEP_2)
	v_and_b32_e32 v6, 7, v10
	v_cmp_lt_i32_e64 s0, 5, v24
	v_cmp_eq_u32_e64 s2, 3, v24
	v_lshrrev_b32_e32 v10, 2, v10
	s_delay_alu instid0(VALU_DEP_4) | instskip(SKIP_4) | instid1(VALU_DEP_3)
	v_cmp_lt_i32_e64 s4, 5, v6
	v_cmp_eq_u32_e64 s5, 3, v6
	v_lshrrev_b32_e32 v6, 2, v23
	s_or_b32 s0, s2, s0
	v_cndmask_b32_e64 v23, 0, 1, s3
	s_or_b32 s2, s5, s4
	s_delay_alu instid0(VALU_DEP_2) | instskip(SKIP_1) | instid1(VALU_DEP_3)
	v_add_co_ci_u32_e64 v6, s0, 0, v6, s0
	v_cmp_gt_i32_e64 s0, 31, v14
	v_lshl_or_b32 v23, v23, 9, 0x7c00
	v_add_co_ci_u32_e64 v10, s2, 0, v10, s2
	v_cmp_gt_i32_e64 s2, 31, v9
	s_delay_alu instid0(VALU_DEP_4) | instskip(SKIP_2) | instid1(VALU_DEP_4)
	v_cndmask_b32_e64 v6, 0x7c00, v6, s0
	v_cmp_eq_u32_e64 s0, 0x40f, v14
	v_cmp_gt_i32_e64 s4, 1, v7
	v_cndmask_b32_e64 v10, 0x7c00, v10, s2
	s_delay_alu instid0(VALU_DEP_3) | instskip(SKIP_2) | instid1(VALU_DEP_2)
	v_cndmask_b32_e64 v6, v6, v23, s0
	v_cmp_ne_u32_e64 s0, 0, v2
	v_lshrrev_b32_e32 v2, 16, v15
	v_cndmask_b32_e64 v14, 0, 1, s0
	v_cmp_eq_u32_e64 s0, 0x40f, v9
	s_delay_alu instid0(VALU_DEP_3) | instskip(NEXT) | instid1(VALU_DEP_3)
	v_and_or_b32 v2, 0x8000, v2, v6
	v_lshl_or_b32 v14, v14, 9, 0x7c00
	s_delay_alu instid0(VALU_DEP_2) | instskip(NEXT) | instid1(VALU_DEP_2)
	v_and_b32_e32 v2, 0xffff, v2
	v_cndmask_b32_e64 v9, v10, v14, s0
	ds_load_2addr_b32 v[14:15], v241 offset0:60 offset1:150
	v_and_or_b32 v3, 0x8000, v3, v9
	v_add_co_u32 v9, s0, v16, s8
	s_delay_alu instid0(VALU_DEP_1) | instskip(NEXT) | instid1(VALU_DEP_3)
	v_add_co_ci_u32_e64 v10, s0, s9, v17, s0
	v_lshl_or_b32 v2, v3, 16, v2
	global_store_b32 v[16:17], v2, off
	scratch_load_b32 v17, off, off offset:156 ; 4-byte Folded Reload
	s_waitcnt lgkmcnt(0)
	v_lshrrev_b32_e32 v23, 16, v14
	v_mul_f16_e32 v2, v29, v14
	s_delay_alu instid0(VALU_DEP_1) | instskip(NEXT) | instid1(VALU_DEP_1)
	v_fma_f16 v2, v28, v23, -v2
	v_cvt_f32_f16_e32 v2, v2
	s_delay_alu instid0(VALU_DEP_1) | instskip(NEXT) | instid1(VALU_DEP_1)
	v_cvt_f64_f32_e32 v[2:3], v2
	v_mul_f64 v[2:3], v[2:3], s[10:11]
	s_delay_alu instid0(VALU_DEP_1) | instskip(SKIP_3) | instid1(VALU_DEP_4)
	v_and_or_b32 v2, 0x1ff, v3, v2
	v_lshrrev_b32_e32 v6, 8, v3
	v_bfe_u32 v24, v3, 20, 11
	v_lshrrev_b32_e32 v3, 16, v3
	v_cmp_ne_u32_e64 s0, 0, v2
	s_delay_alu instid0(VALU_DEP_1) | instskip(NEXT) | instid1(VALU_DEP_1)
	v_cndmask_b32_e64 v2, 0, 1, s0
	v_and_or_b32 v2, 0xffe, v6, v2
	v_sub_nc_u32_e32 v6, 0x3f1, v24
	s_delay_alu instid0(VALU_DEP_2) | instskip(NEXT) | instid1(VALU_DEP_2)
	v_or_b32_e32 v16, 0x1000, v2
	v_med3_i32 v6, v6, 0, 13
	s_delay_alu instid0(VALU_DEP_1) | instskip(NEXT) | instid1(VALU_DEP_1)
	v_lshrrev_b32_e32 v25, v6, v16
	v_lshlrev_b32_e32 v6, v6, v25
	s_delay_alu instid0(VALU_DEP_1) | instskip(SKIP_2) | instid1(VALU_DEP_1)
	v_cmp_ne_u32_e64 s0, v6, v16
	v_lshrrev_b32_e32 v16, 16, v19
	s_waitcnt vmcnt(0)
	v_mul_f16_e32 v6, v17, v16
	v_mul_f16_e32 v17, v17, v19
	s_delay_alu instid0(VALU_DEP_2) | instskip(NEXT) | instid1(VALU_DEP_2)
	v_fmac_f16_e32 v6, v18, v19
	v_fma_f16 v18, v18, v16, -v17
	v_cvt_f32_f16_e32 v16, v20
	s_delay_alu instid0(VALU_DEP_1) | instskip(NEXT) | instid1(VALU_DEP_1)
	v_cvt_f64_f32_e32 v[16:17], v16
	v_mul_f64 v[16:17], v[16:17], s[10:11]
	s_delay_alu instid0(VALU_DEP_1) | instskip(SKIP_1) | instid1(VALU_DEP_2)
	v_and_or_b32 v16, 0x1ff, v17, v16
	v_lshrrev_b32_e32 v19, 8, v17
	v_cmp_ne_u32_e64 s2, 0, v16
	s_delay_alu instid0(VALU_DEP_1) | instskip(NEXT) | instid1(VALU_DEP_1)
	v_cndmask_b32_e64 v16, 0, 1, s2
	v_and_or_b32 v16, 0xffe, v19, v16
	v_bfe_u32 v19, v17, 20, 11
	v_lshrrev_b32_e32 v17, 16, v17
	s_delay_alu instid0(VALU_DEP_3) | instskip(NEXT) | instid1(VALU_DEP_3)
	v_or_b32_e32 v26, 0x1000, v16
	v_sub_nc_u32_e32 v20, 0x3f1, v19
	v_add_nc_u32_e32 v19, 0xfffffc10, v19
	s_delay_alu instid0(VALU_DEP_2) | instskip(NEXT) | instid1(VALU_DEP_1)
	v_med3_i32 v20, v20, 0, 13
	v_lshrrev_b32_e32 v27, v20, v26
	s_delay_alu instid0(VALU_DEP_1) | instskip(NEXT) | instid1(VALU_DEP_1)
	v_lshlrev_b32_e32 v20, v20, v27
	v_cmp_ne_u32_e64 s2, v20, v26
	v_lshl_or_b32 v26, v19, 12, v16
	s_delay_alu instid0(VALU_DEP_2) | instskip(SKIP_1) | instid1(VALU_DEP_2)
	v_cndmask_b32_e64 v20, 0, 1, s2
	v_cmp_gt_i32_e64 s2, 1, v19
	v_or_b32_e32 v20, v27, v20
	scratch_load_b32 v27, off, off offset:132 ; 4-byte Folded Reload
	v_cndmask_b32_e64 v20, v26, v20, s2
	s_delay_alu instid0(VALU_DEP_1) | instskip(NEXT) | instid1(VALU_DEP_1)
	v_and_b32_e32 v26, 7, v20
	v_cmp_lt_i32_e64 s2, 5, v26
	v_cmp_eq_u32_e64 s3, 3, v26
	v_cndmask_b32_e64 v26, 0, 1, vcc_lo
	v_cmp_ne_u32_e32 vcc_lo, 0, v16
	v_lshl_or_b32 v16, v7, 12, v0
	s_delay_alu instid0(VALU_DEP_4) | instskip(NEXT) | instid1(VALU_DEP_3)
	s_or_b32 s2, s3, s2
	v_or_b32_e32 v8, v8, v26
	scratch_load_b32 v26, off, off offset:128 ; 4-byte Folded Reload
	v_cmp_ne_u32_e64 s3, 0, v0
	v_cndmask_b32_e64 v8, v16, v8, s4
	v_lshrrev_b32_e32 v16, 2, v20
	v_cndmask_b32_e64 v20, 0, 1, vcc_lo
	v_cmp_eq_u32_e32 vcc_lo, 0x40f, v19
	s_delay_alu instid0(VALU_DEP_4) | instskip(NEXT) | instid1(VALU_DEP_4)
	v_lshrrev_b32_e32 v0, 2, v8
	v_add_co_ci_u32_e64 v16, s2, 0, v16, s2
	v_cmp_gt_i32_e64 s2, 31, v19
	v_lshl_or_b32 v20, v20, 9, 0x7c00
	v_and_b32_e32 v19, 7, v8
	v_cndmask_b32_e64 v8, 0, 1, s3
	s_delay_alu instid0(VALU_DEP_4) | instskip(NEXT) | instid1(VALU_DEP_3)
	v_cndmask_b32_e64 v16, 0x7c00, v16, s2
	v_cmp_eq_u32_e64 s2, 3, v19
	s_delay_alu instid0(VALU_DEP_3) | instskip(NEXT) | instid1(VALU_DEP_3)
	v_lshl_or_b32 v8, v8, 9, 0x7c00
	v_cndmask_b32_e32 v16, v16, v20, vcc_lo
	v_cmp_lt_i32_e32 vcc_lo, 5, v19
	s_delay_alu instid0(VALU_DEP_4) | instskip(SKIP_2) | instid1(VALU_DEP_2)
	s_or_b32 vcc_lo, s2, vcc_lo
	v_add_co_ci_u32_e32 v0, vcc_lo, 0, v0, vcc_lo
	v_cmp_gt_i32_e32 vcc_lo, 31, v7
	v_cndmask_b32_e32 v0, 0x7c00, v0, vcc_lo
	v_cmp_eq_u32_e32 vcc_lo, 0x40f, v7
	v_and_or_b32 v7, 0x8000, v17, v16
	s_delay_alu instid0(VALU_DEP_3) | instskip(NEXT) | instid1(VALU_DEP_1)
	v_cndmask_b32_e32 v0, v0, v8, vcc_lo
	v_and_or_b32 v0, 0x8000, v1, v0
	s_delay_alu instid0(VALU_DEP_3) | instskip(SKIP_2) | instid1(VALU_DEP_3)
	v_and_b32_e32 v1, 0xffff, v7
	v_add_co_u32 v7, vcc_lo, v9, s12
	v_add_co_ci_u32_e32 v8, vcc_lo, s7, v10, vcc_lo
	v_lshl_or_b32 v0, v0, 16, v1
	global_store_b32 v[9:10], v0, off
	v_cvt_f32_f16_e32 v0, v22
	s_delay_alu instid0(VALU_DEP_1) | instskip(NEXT) | instid1(VALU_DEP_1)
	v_cvt_f64_f32_e32 v[0:1], v0
	v_mul_f64 v[0:1], v[0:1], s[10:11]
	s_delay_alu instid0(VALU_DEP_1) | instskip(SKIP_3) | instid1(VALU_DEP_4)
	v_and_or_b32 v0, 0x1ff, v1, v0
	v_lshrrev_b32_e32 v9, 8, v1
	v_bfe_u32 v16, v1, 20, 11
	v_lshrrev_b32_e32 v1, 16, v1
	v_cmp_ne_u32_e32 vcc_lo, 0, v0
	v_cndmask_b32_e64 v0, 0, 1, vcc_lo
	s_delay_alu instid0(VALU_DEP_1) | instskip(SKIP_1) | instid1(VALU_DEP_2)
	v_and_or_b32 v0, 0xffe, v9, v0
	v_sub_nc_u32_e32 v9, 0x3f1, v16
	v_or_b32_e32 v10, 0x1000, v0
	s_delay_alu instid0(VALU_DEP_2) | instskip(NEXT) | instid1(VALU_DEP_1)
	v_med3_i32 v9, v9, 0, 13
	v_lshrrev_b32_e32 v17, v9, v10
	s_delay_alu instid0(VALU_DEP_1) | instskip(NEXT) | instid1(VALU_DEP_1)
	v_lshlrev_b32_e32 v9, v9, v17
	v_cmp_ne_u32_e32 vcc_lo, v9, v10
	v_cvt_f32_f16_e32 v9, v21
	s_delay_alu instid0(VALU_DEP_1) | instskip(NEXT) | instid1(VALU_DEP_1)
	v_cvt_f64_f32_e32 v[9:10], v9
	v_mul_f64 v[9:10], v[9:10], s[10:11]
	s_delay_alu instid0(VALU_DEP_1) | instskip(SKIP_1) | instid1(VALU_DEP_2)
	v_and_or_b32 v9, 0x1ff, v10, v9
	v_lshrrev_b32_e32 v19, 8, v10
	v_cmp_ne_u32_e64 s2, 0, v9
	s_delay_alu instid0(VALU_DEP_1) | instskip(NEXT) | instid1(VALU_DEP_1)
	v_cndmask_b32_e64 v9, 0, 1, s2
	v_and_or_b32 v9, 0xffe, v19, v9
	v_bfe_u32 v19, v10, 20, 11
	v_lshrrev_b32_e32 v10, 16, v10
	s_delay_alu instid0(VALU_DEP_3) | instskip(NEXT) | instid1(VALU_DEP_3)
	v_or_b32_e32 v21, 0x1000, v9
	v_sub_nc_u32_e32 v20, 0x3f1, v19
	v_add_nc_u32_e32 v19, 0xfffffc10, v19
	v_cmp_ne_u32_e64 s3, 0, v9
	s_delay_alu instid0(VALU_DEP_3) | instskip(NEXT) | instid1(VALU_DEP_1)
	v_med3_i32 v20, v20, 0, 13
	v_lshrrev_b32_e32 v22, v20, v21
	s_delay_alu instid0(VALU_DEP_1) | instskip(NEXT) | instid1(VALU_DEP_1)
	v_lshlrev_b32_e32 v20, v20, v22
	v_cmp_ne_u32_e64 s2, v20, v21
	v_lshl_or_b32 v21, v19, 12, v9
	s_delay_alu instid0(VALU_DEP_2) | instskip(SKIP_1) | instid1(VALU_DEP_2)
	v_cndmask_b32_e64 v20, 0, 1, s2
	v_cmp_gt_i32_e64 s2, 1, v19
	v_or_b32_e32 v20, v22, v20
	s_delay_alu instid0(VALU_DEP_1) | instskip(SKIP_2) | instid1(VALU_DEP_2)
	v_cndmask_b32_e64 v20, v21, v20, s2
	v_cndmask_b32_e64 v21, 0, 1, s1
	v_cmp_gt_i32_e64 s1, 1, v12
	v_or_b32_e32 v13, v13, v21
	v_lshl_or_b32 v21, v12, 12, v11
	s_delay_alu instid0(VALU_DEP_1) | instskip(SKIP_1) | instid1(VALU_DEP_2)
	v_cndmask_b32_e64 v13, v21, v13, s1
	v_and_b32_e32 v21, 7, v20
	v_and_b32_e32 v9, 7, v13
	s_delay_alu instid0(VALU_DEP_2) | instskip(SKIP_1) | instid1(VALU_DEP_3)
	v_cmp_lt_i32_e64 s1, 5, v21
	v_cmp_eq_u32_e64 s2, 3, v21
	v_cmp_lt_i32_e64 s4, 5, v9
	v_cmp_eq_u32_e64 s5, 3, v9
	v_lshrrev_b32_e32 v9, 2, v20
	s_delay_alu instid0(VALU_DEP_4) | instskip(SKIP_1) | instid1(VALU_DEP_3)
	s_or_b32 s1, s2, s1
	v_cndmask_b32_e64 v20, 0, 1, s3
	s_or_b32 s2, s5, s4
	s_delay_alu instid0(VALU_DEP_2) | instskip(SKIP_1) | instid1(VALU_DEP_3)
	v_add_co_ci_u32_e64 v9, s1, 0, v9, s1
	v_cmp_gt_i32_e64 s1, 31, v19
	v_lshl_or_b32 v20, v20, 9, 0x7c00
	s_delay_alu instid0(VALU_DEP_2) | instskip(SKIP_1) | instid1(VALU_DEP_1)
	v_cndmask_b32_e64 v9, 0x7c00, v9, s1
	v_cmp_eq_u32_e64 s1, 0x40f, v19
	v_cndmask_b32_e64 v9, v9, v20, s1
	v_cmp_ne_u32_e64 s1, 0, v11
	v_lshrrev_b32_e32 v11, 2, v13
	s_delay_alu instid0(VALU_DEP_3) | instskip(NEXT) | instid1(VALU_DEP_3)
	v_and_or_b32 v9, 0x8000, v10, v9
	v_cndmask_b32_e64 v13, 0, 1, s1
	s_delay_alu instid0(VALU_DEP_3) | instskip(SKIP_2) | instid1(VALU_DEP_4)
	v_add_co_ci_u32_e64 v11, s2, 0, v11, s2
	v_cmp_gt_i32_e64 s2, 31, v12
	v_cmp_eq_u32_e64 s1, 0x40f, v12
	v_lshl_or_b32 v13, v13, 9, 0x7c00
	scratch_load_b32 v12, off, off offset:144 ; 4-byte Folded Reload
	v_and_b32_e32 v9, 0xffff, v9
	v_cndmask_b32_e64 v11, 0x7c00, v11, s2
	v_lshrrev_b32_e32 v10, 16, v15
	s_delay_alu instid0(VALU_DEP_2) | instskip(NEXT) | instid1(VALU_DEP_1)
	v_cndmask_b32_e64 v11, v11, v13, s1
	v_and_or_b32 v5, 0x8000, v5, v11
	scratch_load_b32 v11, off, off offset:148 ; 4-byte Folded Reload
	v_lshl_or_b32 v5, v5, 16, v9
	v_mul_f16_e32 v9, v29, v23
	scratch_load_b32 v29, off, off offset:140 ; 4-byte Folded Reload
	global_store_b32 v[7:8], v5, off
	v_fmac_f16_e32 v9, v28, v14
	scratch_load_b32 v28, off, off offset:136 ; 4-byte Folded Reload
	v_add_co_u32 v7, s1, v7, s12
	s_delay_alu instid0(VALU_DEP_1) | instskip(SKIP_4) | instid1(VALU_DEP_2)
	v_add_co_ci_u32_e64 v8, s1, s7, v8, s1
	v_cvt_f32_f16_e32 v9, v9
	s_waitcnt vmcnt(2)
	v_mul_f16_e32 v5, v11, v10
	v_mul_f16_e32 v11, v11, v15
	v_fmac_f16_e32 v5, v12, v15
	s_delay_alu instid0(VALU_DEP_2) | instskip(SKIP_1) | instid1(VALU_DEP_1)
	v_fma_f16 v11, v12, v10, -v11
	v_cvt_f64_f32_e32 v[9:10], v9
	v_mul_f64 v[9:10], v[9:10], s[10:11]
	s_delay_alu instid0(VALU_DEP_1) | instskip(SKIP_1) | instid1(VALU_DEP_2)
	v_and_or_b32 v9, 0x1ff, v10, v9
	v_lshrrev_b32_e32 v12, 8, v10
	v_cmp_ne_u32_e64 s1, 0, v9
	s_delay_alu instid0(VALU_DEP_1) | instskip(NEXT) | instid1(VALU_DEP_1)
	v_cndmask_b32_e64 v9, 0, 1, s1
	v_and_or_b32 v9, 0xffe, v12, v9
	v_bfe_u32 v12, v10, 20, 11
	s_delay_alu instid0(VALU_DEP_2) | instskip(NEXT) | instid1(VALU_DEP_2)
	v_or_b32_e32 v14, 0x1000, v9
	v_sub_nc_u32_e32 v13, 0x3f1, v12
	v_add_nc_u32_e32 v12, 0xfffffc10, v12
	v_cmp_ne_u32_e64 s2, 0, v9
	s_delay_alu instid0(VALU_DEP_3) | instskip(NEXT) | instid1(VALU_DEP_1)
	v_med3_i32 v13, v13, 0, 13
	v_lshrrev_b32_e32 v15, v13, v14
	s_delay_alu instid0(VALU_DEP_1) | instskip(NEXT) | instid1(VALU_DEP_1)
	v_lshlrev_b32_e32 v13, v13, v15
	v_cmp_ne_u32_e64 s1, v13, v14
	v_lshl_or_b32 v14, v12, 12, v9
	s_delay_alu instid0(VALU_DEP_2) | instskip(SKIP_1) | instid1(VALU_DEP_2)
	v_cndmask_b32_e64 v13, 0, 1, s1
	v_cmp_gt_i32_e64 s1, 1, v12
	v_or_b32_e32 v13, v15, v13
	v_add_nc_u32_e32 v15, 0xfffffc10, v24
	s_delay_alu instid0(VALU_DEP_2) | instskip(SKIP_1) | instid1(VALU_DEP_3)
	v_cndmask_b32_e64 v13, v14, v13, s1
	v_cndmask_b32_e64 v14, 0, 1, s0
	v_lshl_or_b32 v19, v15, 12, v2
	v_cmp_gt_i32_e64 s0, 1, v15
	s_delay_alu instid0(VALU_DEP_3) | instskip(NEXT) | instid1(VALU_DEP_1)
	v_or_b32_e32 v14, v25, v14
	v_cndmask_b32_e64 v14, v19, v14, s0
	v_and_b32_e32 v19, 7, v13
	s_delay_alu instid0(VALU_DEP_2) | instskip(NEXT) | instid1(VALU_DEP_2)
	v_and_b32_e32 v9, 7, v14
	v_cmp_lt_i32_e64 s0, 5, v19
	v_cmp_eq_u32_e64 s1, 3, v19
	s_delay_alu instid0(VALU_DEP_3) | instskip(SKIP_2) | instid1(VALU_DEP_4)
	v_cmp_lt_i32_e64 s3, 5, v9
	v_cmp_eq_u32_e64 s4, 3, v9
	v_lshrrev_b32_e32 v9, 2, v13
	s_or_b32 s0, s1, s0
	v_cndmask_b32_e64 v13, 0, 1, s2
	s_delay_alu instid0(VALU_DEP_3) | instskip(NEXT) | instid1(VALU_DEP_2)
	s_or_b32 s1, s4, s3
	v_add_co_ci_u32_e64 v9, s0, 0, v9, s0
	v_cmp_gt_i32_e64 s0, 31, v12
	s_delay_alu instid0(VALU_DEP_3) | instskip(NEXT) | instid1(VALU_DEP_2)
	v_lshl_or_b32 v13, v13, 9, 0x7c00
	v_cndmask_b32_e64 v9, 0x7c00, v9, s0
	v_cmp_eq_u32_e64 s0, 0x40f, v12
	s_delay_alu instid0(VALU_DEP_1) | instskip(SKIP_3) | instid1(VALU_DEP_3)
	v_cndmask_b32_e64 v9, v9, v13, s0
	v_cmp_ne_u32_e64 s0, 0, v2
	v_lshrrev_b32_e32 v2, 16, v10
	v_lshrrev_b32_e32 v10, 2, v14
	v_cndmask_b32_e64 v12, 0, 1, s0
	v_cmp_eq_u32_e64 s0, 0x40f, v15
	s_delay_alu instid0(VALU_DEP_3) | instskip(SKIP_1) | instid1(VALU_DEP_4)
	v_add_co_ci_u32_e64 v10, s1, 0, v10, s1
	v_cmp_gt_i32_e64 s1, 31, v15
	v_lshl_or_b32 v12, v12, 9, 0x7c00
	v_and_or_b32 v2, 0x8000, v2, v9
	s_delay_alu instid0(VALU_DEP_3) | instskip(NEXT) | instid1(VALU_DEP_2)
	v_cndmask_b32_e64 v10, 0x7c00, v10, s1
	v_and_b32_e32 v2, 0xffff, v2
	s_delay_alu instid0(VALU_DEP_2) | instskip(NEXT) | instid1(VALU_DEP_1)
	v_cndmask_b32_e64 v10, v10, v12, s0
	v_and_or_b32 v3, 0x8000, v3, v10
	s_delay_alu instid0(VALU_DEP_1) | instskip(SKIP_4) | instid1(VALU_DEP_2)
	v_lshl_or_b32 v2, v3, 16, v2
	global_store_b32 v[7:8], v2, off
	v_add_co_u32 v2, s0, v7, s8
	v_cvt_f32_f16_e32 v7, v18
	v_add_co_ci_u32_e64 v3, s0, s9, v8, s0
	v_cvt_f64_f32_e32 v[7:8], v7
	s_delay_alu instid0(VALU_DEP_1) | instskip(NEXT) | instid1(VALU_DEP_1)
	v_mul_f64 v[7:8], v[7:8], s[10:11]
	v_and_or_b32 v7, 0x1ff, v8, v7
	v_lshrrev_b32_e32 v9, 8, v8
	v_bfe_u32 v18, v8, 20, 11
	s_delay_alu instid0(VALU_DEP_3) | instskip(NEXT) | instid1(VALU_DEP_1)
	v_cmp_ne_u32_e64 s0, 0, v7
	v_cndmask_b32_e64 v7, 0, 1, s0
	s_delay_alu instid0(VALU_DEP_1) | instskip(NEXT) | instid1(VALU_DEP_4)
	v_and_or_b32 v7, 0xffe, v9, v7
	v_sub_nc_u32_e32 v9, 0x3f1, v18
	s_delay_alu instid0(VALU_DEP_2) | instskip(NEXT) | instid1(VALU_DEP_2)
	v_or_b32_e32 v10, 0x1000, v7
	v_med3_i32 v9, v9, 0, 13
	s_delay_alu instid0(VALU_DEP_1) | instskip(NEXT) | instid1(VALU_DEP_1)
	v_lshrrev_b32_e32 v19, v9, v10
	v_lshlrev_b32_e32 v9, v9, v19
	s_delay_alu instid0(VALU_DEP_1) | instskip(SKIP_1) | instid1(VALU_DEP_1)
	v_cmp_ne_u32_e64 s1, v9, v10
	v_cvt_f64_f32_e32 v[9:10], v4
	v_mul_f64 v[9:10], v[9:10], s[10:11]
	s_delay_alu instid0(VALU_DEP_1) | instskip(SKIP_1) | instid1(VALU_DEP_2)
	v_and_or_b32 v4, 0x1ff, v10, v9
	v_lshrrev_b32_e32 v9, 8, v10
	v_cmp_ne_u32_e64 s0, 0, v4
	s_delay_alu instid0(VALU_DEP_1) | instskip(NEXT) | instid1(VALU_DEP_1)
	v_cndmask_b32_e64 v4, 0, 1, s0
	v_and_or_b32 v4, 0xffe, v9, v4
	v_bfe_u32 v9, v10, 20, 11
	s_delay_alu instid0(VALU_DEP_2) | instskip(NEXT) | instid1(VALU_DEP_2)
	v_or_b32_e32 v13, 0x1000, v4
	v_sub_nc_u32_e32 v12, 0x3f1, v9
	v_add_nc_u32_e32 v9, 0xfffffc10, v9
	s_delay_alu instid0(VALU_DEP_2) | instskip(NEXT) | instid1(VALU_DEP_1)
	v_med3_i32 v12, v12, 0, 13
	v_lshrrev_b32_e32 v14, v12, v13
	s_delay_alu instid0(VALU_DEP_1) | instskip(NEXT) | instid1(VALU_DEP_1)
	v_lshlrev_b32_e32 v12, v12, v14
	v_cmp_ne_u32_e64 s0, v12, v13
	v_lshl_or_b32 v13, v9, 12, v4
	s_delay_alu instid0(VALU_DEP_2) | instskip(SKIP_1) | instid1(VALU_DEP_2)
	v_cndmask_b32_e64 v12, 0, 1, s0
	v_cmp_gt_i32_e64 s0, 1, v9
	v_or_b32_e32 v12, v14, v12
	s_delay_alu instid0(VALU_DEP_1) | instskip(NEXT) | instid1(VALU_DEP_1)
	v_cndmask_b32_e64 v12, v13, v12, s0
	v_and_b32_e32 v13, 7, v12
	v_lshrrev_b32_e32 v12, 2, v12
	s_delay_alu instid0(VALU_DEP_2) | instskip(SKIP_4) | instid1(VALU_DEP_4)
	v_cmp_lt_i32_e64 s0, 5, v13
	v_cmp_eq_u32_e64 s2, 3, v13
	v_cndmask_b32_e64 v13, 0, 1, vcc_lo
	v_cmp_ne_u32_e32 vcc_lo, 0, v4
	v_add_nc_u32_e32 v4, 0xfffffc10, v16
	s_or_b32 s0, s2, s0
	s_delay_alu instid0(VALU_DEP_3) | instskip(SKIP_1) | instid1(VALU_DEP_3)
	v_or_b32_e32 v13, v17, v13
	v_add_co_ci_u32_e64 v12, s0, 0, v12, s0
	v_lshl_or_b32 v14, v4, 12, v0
	v_cmp_gt_i32_e64 s3, 1, v4
	v_cmp_gt_i32_e64 s0, 31, v9
	v_cmp_ne_u32_e64 s2, 0, v0
	v_lshrrev_b32_e32 v0, 16, v10
	s_delay_alu instid0(VALU_DEP_4) | instskip(SKIP_3) | instid1(VALU_DEP_4)
	v_cndmask_b32_e64 v13, v14, v13, s3
	v_cndmask_b32_e64 v14, 0, 1, vcc_lo
	v_cndmask_b32_e64 v12, 0x7c00, v12, s0
	v_cmp_eq_u32_e32 vcc_lo, 0x40f, v9
	v_lshrrev_b32_e32 v10, 2, v13
	s_delay_alu instid0(VALU_DEP_4) | instskip(NEXT) | instid1(VALU_DEP_1)
	v_lshl_or_b32 v14, v14, 9, 0x7c00
	v_dual_cndmask_b32 v9, v12, v14 :: v_dual_and_b32 v12, 7, v13
	s_delay_alu instid0(VALU_DEP_1) | instskip(NEXT) | instid1(VALU_DEP_2)
	v_and_or_b32 v0, 0x8000, v0, v9
	v_cmp_lt_i32_e32 vcc_lo, 5, v12
	v_cmp_eq_u32_e64 s0, 3, v12
	v_cndmask_b32_e64 v12, 0, 1, s2
	s_delay_alu instid0(VALU_DEP_4) | instskip(NEXT) | instid1(VALU_DEP_3)
	v_and_b32_e32 v0, 0xffff, v0
	s_or_b32 vcc_lo, s0, vcc_lo
	s_delay_alu instid0(VALU_DEP_2) | instskip(SKIP_2) | instid1(VALU_DEP_2)
	v_lshl_or_b32 v12, v12, 9, 0x7c00
	v_add_co_ci_u32_e32 v10, vcc_lo, 0, v10, vcc_lo
	v_cmp_gt_i32_e32 vcc_lo, 31, v4
	v_cndmask_b32_e32 v10, 0x7c00, v10, vcc_lo
	v_cmp_eq_u32_e32 vcc_lo, 0x40f, v4
	s_delay_alu instid0(VALU_DEP_2) | instskip(SKIP_2) | instid1(VALU_DEP_3)
	v_cndmask_b32_e32 v4, v10, v12, vcc_lo
	v_add_co_u32 v12, vcc_lo, v2, s12
	v_add_co_ci_u32_e32 v13, vcc_lo, s7, v3, vcc_lo
	v_and_or_b32 v1, 0x8000, v1, v4
	s_delay_alu instid0(VALU_DEP_1)
	v_lshl_or_b32 v0, v1, 16, v0
	global_store_b32 v[2:3], v0, off
	v_cvt_f32_f16_e32 v0, v11
	ds_load_2addr_b32 v[3:4], v135 offset0:104 offset1:194
	v_cvt_f64_f32_e32 v[0:1], v0
	s_waitcnt lgkmcnt(0)
	v_lshrrev_b32_e32 v22, 16, v3
	s_delay_alu instid0(VALU_DEP_2) | instskip(NEXT) | instid1(VALU_DEP_1)
	v_mul_f64 v[14:15], v[0:1], s[10:11]
	v_and_or_b32 v0, 0x1ff, v15, v14
	v_lshrrev_b32_e32 v1, 8, v15
	v_bfe_u32 v20, v15, 20, 11
	s_delay_alu instid0(VALU_DEP_3) | instskip(SKIP_1) | instid1(VALU_DEP_1)
	v_cmp_ne_u32_e32 vcc_lo, 0, v0
	v_cndmask_b32_e64 v0, 0, 1, vcc_lo
	v_and_or_b32 v14, 0xffe, v1, v0
	s_delay_alu instid0(VALU_DEP_4) | instskip(SKIP_1) | instid1(VALU_DEP_3)
	v_sub_nc_u32_e32 v0, 0x3f1, v20
	v_add_nc_u32_e32 v20, 0xfffffc10, v20
	v_or_b32_e32 v1, 0x1000, v14
	s_delay_alu instid0(VALU_DEP_3) | instskip(NEXT) | instid1(VALU_DEP_1)
	v_med3_i32 v0, v0, 0, 13
	v_lshrrev_b32_e32 v21, v0, v1
	s_delay_alu instid0(VALU_DEP_1) | instskip(NEXT) | instid1(VALU_DEP_1)
	v_lshlrev_b32_e32 v0, v0, v21
	v_cmp_ne_u32_e64 s2, v0, v1
	s_waitcnt vmcnt(1)
	v_mul_f16_e32 v0, v29, v3
	s_waitcnt vmcnt(0)
	s_delay_alu instid0(VALU_DEP_1) | instskip(NEXT) | instid1(VALU_DEP_1)
	v_fma_f16 v0, v28, v22, -v0
	v_cvt_f32_f16_e32 v0, v0
	s_delay_alu instid0(VALU_DEP_1) | instskip(NEXT) | instid1(VALU_DEP_1)
	v_cvt_f64_f32_e32 v[0:1], v0
	v_mul_f64 v[1:2], v[0:1], s[10:11]
	s_delay_alu instid0(VALU_DEP_1) | instskip(SKIP_3) | instid1(VALU_DEP_4)
	v_and_or_b32 v0, 0x1ff, v2, v1
	v_lshrrev_b32_e32 v1, 8, v2
	v_bfe_u32 v10, v2, 20, 11
	v_lshrrev_b32_e32 v2, 16, v2
	v_cmp_ne_u32_e32 vcc_lo, 0, v0
	v_cndmask_b32_e64 v0, 0, 1, vcc_lo
	s_delay_alu instid0(VALU_DEP_1) | instskip(SKIP_1) | instid1(VALU_DEP_2)
	v_and_or_b32 v9, 0xffe, v1, v0
	v_sub_nc_u32_e32 v0, 0x3f1, v10
	v_or_b32_e32 v1, 0x1000, v9
	s_delay_alu instid0(VALU_DEP_2) | instskip(NEXT) | instid1(VALU_DEP_1)
	v_med3_i32 v0, v0, 0, 13
	v_lshrrev_b32_e32 v11, v0, v1
	s_delay_alu instid0(VALU_DEP_1) | instskip(NEXT) | instid1(VALU_DEP_1)
	v_lshlrev_b32_e32 v0, v0, v11
	v_cmp_ne_u32_e64 s0, v0, v1
	v_cvt_f32_f16_e32 v0, v6
	s_delay_alu instid0(VALU_DEP_1) | instskip(NEXT) | instid1(VALU_DEP_1)
	v_cvt_f64_f32_e32 v[0:1], v0
	v_mul_f64 v[0:1], v[0:1], s[10:11]
	s_delay_alu instid0(VALU_DEP_1) | instskip(SKIP_1) | instid1(VALU_DEP_2)
	v_and_or_b32 v0, 0x1ff, v1, v0
	v_lshrrev_b32_e32 v6, 8, v1
	v_cmp_ne_u32_e32 vcc_lo, 0, v0
	v_cndmask_b32_e64 v0, 0, 1, vcc_lo
	s_delay_alu instid0(VALU_DEP_1) | instskip(SKIP_2) | instid1(VALU_DEP_3)
	v_and_or_b32 v0, 0xffe, v6, v0
	v_bfe_u32 v6, v1, 20, 11
	v_lshrrev_b32_e32 v1, 16, v1
	v_or_b32_e32 v17, 0x1000, v0
	s_delay_alu instid0(VALU_DEP_3) | instskip(SKIP_2) | instid1(VALU_DEP_3)
	v_sub_nc_u32_e32 v16, 0x3f1, v6
	v_add_nc_u32_e32 v6, 0xfffffc10, v6
	v_cmp_ne_u32_e64 s4, 0, v0
	v_med3_i32 v16, v16, 0, 13
	s_delay_alu instid0(VALU_DEP_1) | instskip(NEXT) | instid1(VALU_DEP_1)
	v_lshrrev_b32_e32 v23, v16, v17
	v_lshlrev_b32_e32 v16, v16, v23
	s_delay_alu instid0(VALU_DEP_1) | instskip(SKIP_4) | instid1(VALU_DEP_3)
	v_cmp_ne_u32_e32 vcc_lo, v16, v17
	v_lshl_or_b32 v17, v6, 12, v0
	v_cndmask_b32_e64 v0, 0, 1, s1
	v_cndmask_b32_e64 v16, 0, 1, vcc_lo
	v_cmp_gt_i32_e32 vcc_lo, 1, v6
	v_or_b32_e32 v0, v19, v0
	s_delay_alu instid0(VALU_DEP_3) | instskip(NEXT) | instid1(VALU_DEP_1)
	v_or_b32_e32 v16, v23, v16
	v_cndmask_b32_e32 v16, v17, v16, vcc_lo
	s_delay_alu instid0(VALU_DEP_1) | instskip(SKIP_1) | instid1(VALU_DEP_2)
	v_and_b32_e32 v17, 7, v16
	v_lshrrev_b32_e32 v16, 2, v16
	v_cmp_lt_i32_e32 vcc_lo, 5, v17
	v_cmp_eq_u32_e64 s3, 3, v17
	v_add_nc_u32_e32 v17, 0xfffffc10, v18
	s_delay_alu instid0(VALU_DEP_2) | instskip(NEXT) | instid1(VALU_DEP_1)
	s_or_b32 vcc_lo, s3, vcc_lo
	v_lshl_or_b32 v18, v17, 12, v7
	v_cmp_gt_i32_e64 s1, 1, v17
	v_add_co_ci_u32_e32 v16, vcc_lo, 0, v16, vcc_lo
	v_cmp_gt_i32_e32 vcc_lo, 31, v6
	v_cmp_ne_u32_e64 s3, 0, v7
	s_delay_alu instid0(VALU_DEP_4) | instskip(SKIP_4) | instid1(VALU_DEP_4)
	v_cndmask_b32_e64 v0, v18, v0, s1
	v_cndmask_b32_e64 v18, 0, 1, s4
	v_cndmask_b32_e32 v16, 0x7c00, v16, vcc_lo
	v_cmp_eq_u32_e32 vcc_lo, 0x40f, v6
	v_cndmask_b32_e64 v7, 0, 1, s3
	v_lshl_or_b32 v18, v18, 9, 0x7c00
	s_delay_alu instid0(VALU_DEP_2) | instskip(NEXT) | instid1(VALU_DEP_2)
	v_lshl_or_b32 v7, v7, 9, 0x7c00
	v_cndmask_b32_e32 v6, v16, v18, vcc_lo
	v_and_b32_e32 v16, 7, v0
	v_lshrrev_b32_e32 v0, 2, v0
	s_delay_alu instid0(VALU_DEP_3) | instskip(NEXT) | instid1(VALU_DEP_3)
	v_and_or_b32 v1, 0x8000, v1, v6
	v_cmp_lt_i32_e32 vcc_lo, 5, v16
	v_cmp_eq_u32_e64 s1, 3, v16
	s_delay_alu instid0(VALU_DEP_3) | instskip(NEXT) | instid1(VALU_DEP_2)
	v_and_b32_e32 v1, 0xffff, v1
	s_or_b32 vcc_lo, s1, vcc_lo
	v_add_co_ci_u32_e32 v0, vcc_lo, 0, v0, vcc_lo
	v_cmp_gt_i32_e32 vcc_lo, 31, v17
	s_delay_alu instid0(VALU_DEP_2) | instskip(SKIP_4) | instid1(VALU_DEP_1)
	v_cndmask_b32_e32 v0, 0x7c00, v0, vcc_lo
	v_cmp_eq_u32_e32 vcc_lo, 0x40f, v17
	ds_load_2addr_b32 v[16:17], v95 offset0:108 offset1:198
	v_cndmask_b32_e32 v0, v0, v7, vcc_lo
	v_lshrrev_b32_e32 v7, 16, v8
	v_and_or_b32 v0, 0x8000, v7, v0
	s_delay_alu instid0(VALU_DEP_1)
	v_lshl_or_b32 v0, v0, 16, v1
	global_store_b32 v[12:13], v0, off
	s_waitcnt lgkmcnt(0)
	v_lshrrev_b32_e32 v23, 16, v16
	v_mul_f16_e32 v0, v27, v16
	v_add_co_u32 v12, vcc_lo, v12, s12
	v_add_co_ci_u32_e32 v13, vcc_lo, s7, v13, vcc_lo
	s_delay_alu instid0(VALU_DEP_3) | instskip(NEXT) | instid1(VALU_DEP_1)
	v_fma_f16 v0, v26, v23, -v0
	v_cvt_f32_f16_e32 v0, v0
	s_delay_alu instid0(VALU_DEP_1) | instskip(NEXT) | instid1(VALU_DEP_1)
	v_cvt_f64_f32_e32 v[0:1], v0
	v_mul_f64 v[0:1], v[0:1], s[10:11]
	s_delay_alu instid0(VALU_DEP_1) | instskip(SKIP_3) | instid1(VALU_DEP_4)
	v_and_or_b32 v0, 0x1ff, v1, v0
	v_lshrrev_b32_e32 v6, 8, v1
	v_bfe_u32 v7, v1, 20, 11
	v_lshrrev_b32_e32 v1, 16, v1
	v_cmp_ne_u32_e32 vcc_lo, 0, v0
	v_cndmask_b32_e64 v0, 0, 1, vcc_lo
	s_delay_alu instid0(VALU_DEP_1) | instskip(SKIP_2) | instid1(VALU_DEP_3)
	v_and_or_b32 v6, 0xffe, v6, v0
	v_sub_nc_u32_e32 v0, 0x3f1, v7
	v_add_nc_u32_e32 v7, 0xfffffc10, v7
	v_or_b32_e32 v18, 0x1000, v6
	s_delay_alu instid0(VALU_DEP_3) | instskip(SKIP_1) | instid1(VALU_DEP_2)
	v_med3_i32 v0, v0, 0, 13
	v_cmp_ne_u32_e64 s6, 0, v6
	v_lshrrev_b32_e32 v8, v0, v18
	s_delay_alu instid0(VALU_DEP_1) | instskip(NEXT) | instid1(VALU_DEP_1)
	v_lshlrev_b32_e32 v0, v0, v8
	v_cmp_ne_u32_e32 vcc_lo, v0, v18
	v_cvt_f32_f16_e32 v0, v5
	s_delay_alu instid0(VALU_DEP_1) | instskip(NEXT) | instid1(VALU_DEP_1)
	v_cvt_f64_f32_e32 v[18:19], v0
	v_mul_f64 v[18:19], v[18:19], s[10:11]
	s_delay_alu instid0(VALU_DEP_1) | instskip(SKIP_1) | instid1(VALU_DEP_2)
	v_and_or_b32 v0, 0x1ff, v19, v18
	v_lshrrev_b32_e32 v5, 8, v19
	v_cmp_ne_u32_e64 s1, 0, v0
	s_delay_alu instid0(VALU_DEP_1) | instskip(NEXT) | instid1(VALU_DEP_1)
	v_cndmask_b32_e64 v0, 0, 1, s1
	v_and_or_b32 v0, 0xffe, v5, v0
	v_bfe_u32 v5, v19, 20, 11
	s_delay_alu instid0(VALU_DEP_2) | instskip(NEXT) | instid1(VALU_DEP_2)
	v_or_b32_e32 v24, 0x1000, v0
	v_sub_nc_u32_e32 v18, 0x3f1, v5
	v_add_nc_u32_e32 v5, 0xfffffc10, v5
	v_cmp_ne_u32_e64 s4, 0, v0
	s_delay_alu instid0(VALU_DEP_3) | instskip(NEXT) | instid1(VALU_DEP_1)
	v_med3_i32 v18, v18, 0, 13
	v_lshrrev_b32_e32 v25, v18, v24
	s_delay_alu instid0(VALU_DEP_1) | instskip(NEXT) | instid1(VALU_DEP_1)
	v_lshlrev_b32_e32 v18, v18, v25
	v_cmp_ne_u32_e64 s1, v18, v24
	v_lshl_or_b32 v24, v5, 12, v0
	v_cndmask_b32_e64 v0, 0, 1, s2
	v_cmp_gt_i32_e64 s2, 1, v20
	s_delay_alu instid0(VALU_DEP_4) | instskip(SKIP_1) | instid1(VALU_DEP_4)
	v_cndmask_b32_e64 v18, 0, 1, s1
	v_cmp_gt_i32_e64 s1, 1, v5
	v_or_b32_e32 v0, v21, v0
	v_lshl_or_b32 v21, v20, 12, v14
	s_delay_alu instid0(VALU_DEP_4) | instskip(NEXT) | instid1(VALU_DEP_2)
	v_or_b32_e32 v18, v25, v18
	v_cndmask_b32_e64 v0, v21, v0, s2
	v_cndmask_b32_e64 v21, 0, 1, s4
	s_delay_alu instid0(VALU_DEP_3) | instskip(NEXT) | instid1(VALU_DEP_2)
	v_cndmask_b32_e64 v18, v24, v18, s1
	v_lshl_or_b32 v21, v21, 9, 0x7c00
	s_delay_alu instid0(VALU_DEP_2) | instskip(SKIP_1) | instid1(VALU_DEP_2)
	v_and_b32_e32 v24, 7, v18
	v_lshrrev_b32_e32 v18, 2, v18
	v_cmp_lt_i32_e64 s1, 5, v24
	v_cmp_eq_u32_e64 s3, 3, v24
	scratch_load_b32 v24, off, off offset:108 ; 4-byte Folded Reload
	s_or_b32 s1, s3, s1
	v_cmp_ne_u32_e64 s3, 0, v14
	v_add_co_ci_u32_e64 v18, s1, 0, v18, s1
	v_cmp_gt_i32_e64 s1, 31, v5
	s_delay_alu instid0(VALU_DEP_3) | instskip(NEXT) | instid1(VALU_DEP_2)
	v_cndmask_b32_e64 v14, 0, 1, s3
	v_cndmask_b32_e64 v18, 0x7c00, v18, s1
	v_cmp_eq_u32_e64 s1, 0x40f, v5
	s_delay_alu instid0(VALU_DEP_3) | instskip(NEXT) | instid1(VALU_DEP_2)
	v_lshl_or_b32 v14, v14, 9, 0x7c00
	v_cndmask_b32_e64 v5, v18, v21, s1
	v_lshrrev_b32_e32 v18, 16, v19
	v_and_b32_e32 v19, 7, v0
	v_lshrrev_b32_e32 v0, 2, v0
	s_delay_alu instid0(VALU_DEP_3) | instskip(NEXT) | instid1(VALU_DEP_3)
	v_and_or_b32 v5, 0x8000, v18, v5
	v_cmp_lt_i32_e64 s1, 5, v19
	v_cmp_eq_u32_e64 s2, 3, v19
	s_delay_alu instid0(VALU_DEP_3) | instskip(NEXT) | instid1(VALU_DEP_2)
	v_and_b32_e32 v5, 0xffff, v5
	s_or_b32 s1, s2, s1
	s_delay_alu instid0(SALU_CYCLE_1) | instskip(SKIP_1) | instid1(VALU_DEP_1)
	v_add_co_ci_u32_e64 v0, s1, 0, v0, s1
	v_cmp_gt_i32_e64 s1, 31, v20
	v_cndmask_b32_e64 v0, 0x7c00, v0, s1
	v_cmp_eq_u32_e64 s1, 0x40f, v20
	s_delay_alu instid0(VALU_DEP_1)
	v_cndmask_b32_e64 v0, v0, v14, s1
	v_lshrrev_b32_e32 v14, 16, v15
	scratch_load_b32 v15, off, off offset:120 ; 4-byte Folded Reload
	v_and_or_b32 v0, 0x8000, v14, v0
	scratch_load_b32 v14, off, off offset:124 ; 4-byte Folded Reload
	v_lshl_or_b32 v0, v0, 16, v5
	global_store_b32 v[12:13], v0, off
	v_mul_f16_e32 v0, v29, v22
	v_add_co_u32 v12, s1, v12, s8
	s_delay_alu instid0(VALU_DEP_1) | instskip(NEXT) | instid1(VALU_DEP_3)
	v_add_co_ci_u32_e64 v13, s1, s9, v13, s1
	v_fmac_f16_e32 v0, v28, v3
	v_lshrrev_b32_e32 v3, 16, v4
	s_delay_alu instid0(VALU_DEP_2) | instskip(SKIP_1) | instid1(VALU_DEP_2)
	v_cvt_f32_f16_e32 v0, v0
	s_waitcnt vmcnt(0)
	v_mul_f16_e32 v5, v14, v3
	v_mul_f16_e32 v14, v14, v4
	s_delay_alu instid0(VALU_DEP_2) | instskip(NEXT) | instid1(VALU_DEP_2)
	v_fmac_f16_e32 v5, v15, v4
	v_fma_f16 v18, v15, v3, -v14
	v_cvt_f64_f32_e32 v[3:4], v0
	s_delay_alu instid0(VALU_DEP_3) | instskip(NEXT) | instid1(VALU_DEP_2)
	v_cvt_f32_f16_e32 v5, v5
	v_mul_f64 v[3:4], v[3:4], s[10:11]
	s_delay_alu instid0(VALU_DEP_1) | instskip(SKIP_1) | instid1(VALU_DEP_2)
	v_and_or_b32 v0, 0x1ff, v4, v3
	v_lshrrev_b32_e32 v3, 8, v4
	v_cmp_ne_u32_e64 s1, 0, v0
	s_delay_alu instid0(VALU_DEP_1) | instskip(NEXT) | instid1(VALU_DEP_1)
	v_cndmask_b32_e64 v0, 0, 1, s1
	v_and_or_b32 v0, 0xffe, v3, v0
	v_bfe_u32 v3, v4, 20, 11
	v_lshrrev_b32_e32 v4, 16, v4
	s_delay_alu instid0(VALU_DEP_3) | instskip(NEXT) | instid1(VALU_DEP_3)
	v_or_b32_e32 v15, 0x1000, v0
	v_sub_nc_u32_e32 v14, 0x3f1, v3
	v_add_nc_u32_e32 v3, 0xfffffc10, v3
	s_delay_alu instid0(VALU_DEP_2) | instskip(NEXT) | instid1(VALU_DEP_1)
	v_med3_i32 v14, v14, 0, 13
	v_lshrrev_b32_e32 v19, v14, v15
	s_delay_alu instid0(VALU_DEP_1) | instskip(NEXT) | instid1(VALU_DEP_1)
	v_lshlrev_b32_e32 v14, v14, v19
	v_cmp_ne_u32_e64 s1, v14, v15
	v_lshl_or_b32 v15, v3, 12, v0
	s_delay_alu instid0(VALU_DEP_2) | instskip(SKIP_1) | instid1(VALU_DEP_2)
	v_cndmask_b32_e64 v14, 0, 1, s1
	v_cmp_gt_i32_e64 s1, 1, v3
	v_or_b32_e32 v14, v19, v14
	v_mul_f16_e32 v19, v27, v23
	scratch_load_b32 v23, off, off offset:104 ; 4-byte Folded Reload
	v_cndmask_b32_e64 v14, v15, v14, s1
	v_fmac_f16_e32 v19, v26, v16
	s_delay_alu instid0(VALU_DEP_2) | instskip(NEXT) | instid1(VALU_DEP_1)
	v_and_b32_e32 v15, 7, v14
	v_cmp_lt_i32_e64 s1, 5, v15
	v_cmp_eq_u32_e64 s2, 3, v15
	v_cndmask_b32_e64 v15, 0, 1, s0
	v_cmp_ne_u32_e64 s0, 0, v0
	v_add_nc_u32_e32 v0, 0xfffffc10, v10
	s_delay_alu instid0(VALU_DEP_4) | instskip(NEXT) | instid1(VALU_DEP_3)
	s_or_b32 s1, s2, s1
	v_or_b32_e32 v11, v11, v15
	v_cmp_ne_u32_e64 s2, 0, v9
	s_delay_alu instid0(VALU_DEP_3) | instskip(SKIP_1) | instid1(VALU_DEP_1)
	v_lshl_or_b32 v10, v0, 12, v9
	v_cmp_gt_i32_e64 s3, 1, v0
	v_cndmask_b32_e64 v10, v10, v11, s3
	v_lshrrev_b32_e32 v11, 2, v14
	v_cndmask_b32_e64 v14, 0, 1, s0
	v_cmp_eq_u32_e64 s0, 0x40f, v3
	s_delay_alu instid0(VALU_DEP_4) | instskip(NEXT) | instid1(VALU_DEP_4)
	v_lshrrev_b32_e32 v9, 2, v10
	v_add_co_ci_u32_e64 v11, s1, 0, v11, s1
	v_cmp_gt_i32_e64 s1, 31, v3
	v_lshl_or_b32 v14, v14, 9, 0x7c00
	s_delay_alu instid0(VALU_DEP_2) | instskip(NEXT) | instid1(VALU_DEP_1)
	v_cndmask_b32_e64 v11, 0x7c00, v11, s1
	v_cndmask_b32_e64 v3, v11, v14, s0
	v_and_b32_e32 v11, 7, v10
	v_cndmask_b32_e64 v10, 0, 1, s2
	ds_load_2addr_b32 v[14:15], v185 offset0:112 offset1:202
	v_and_or_b32 v3, 0x8000, v4, v3
	v_cmp_lt_i32_e64 s0, 5, v11
	v_cmp_eq_u32_e64 s1, 3, v11
	v_lshl_or_b32 v10, v10, 9, 0x7c00
	s_delay_alu instid0(VALU_DEP_2) | instskip(NEXT) | instid1(SALU_CYCLE_1)
	s_or_b32 s0, s1, s0
	v_add_co_ci_u32_e64 v9, s0, 0, v9, s0
	v_cmp_gt_i32_e64 s0, 31, v0
	s_delay_alu instid0(VALU_DEP_1) | instskip(SKIP_3) | instid1(VALU_DEP_2)
	v_cndmask_b32_e64 v9, 0x7c00, v9, s0
	v_cmp_eq_u32_e64 s0, 0x40f, v0
	s_waitcnt lgkmcnt(0)
	v_lshrrev_b32_e32 v20, 16, v14
	v_cndmask_b32_e64 v0, v9, v10, s0
	scratch_load_b32 v10, off, off offset:112 ; 4-byte Folded Reload
	v_and_or_b32 v0, 0x8000, v2, v0
	v_and_b32_e32 v2, 0xffff, v3
	s_delay_alu instid0(VALU_DEP_1) | instskip(SKIP_4) | instid1(VALU_DEP_1)
	v_lshl_or_b32 v0, v0, 16, v2
	scratch_load_b32 v2, off, off offset:116 ; 4-byte Folded Reload
	global_store_b32 v[12:13], v0, off
	v_lshrrev_b32_e32 v0, 16, v17
	v_add_co_u32 v12, s0, v12, s12
	v_add_co_ci_u32_e64 v13, s0, s7, v13, s0
	s_waitcnt vmcnt(0)
	s_delay_alu instid0(VALU_DEP_3) | instskip(SKIP_2) | instid1(VALU_DEP_3)
	v_mul_f16_e32 v4, v2, v0
	v_mul_f16_e32 v9, v2, v17
	;; [unrolled: 1-line block ×3, first 2 shown]
	v_fmac_f16_e32 v4, v10, v17
	s_delay_alu instid0(VALU_DEP_3) | instskip(NEXT) | instid1(VALU_DEP_3)
	v_fma_f16 v9, v10, v0, -v9
	v_fma_f16 v2, v23, v20, -v2
	v_cvt_f32_f16_e32 v0, v18
	s_delay_alu instid0(VALU_DEP_2) | instskip(NEXT) | instid1(VALU_DEP_1)
	v_cvt_f32_f16_e32 v2, v2
	v_cvt_f64_f32_e32 v[2:3], v2
	s_delay_alu instid0(VALU_DEP_1) | instskip(NEXT) | instid1(VALU_DEP_1)
	v_mul_f64 v[16:17], v[2:3], s[10:11]
	v_and_or_b32 v2, 0x1ff, v17, v16
	v_lshrrev_b32_e32 v3, 8, v17
	v_bfe_u32 v21, v17, 20, 11
	s_delay_alu instid0(VALU_DEP_3) | instskip(NEXT) | instid1(VALU_DEP_1)
	v_cmp_ne_u32_e64 s0, 0, v2
	v_cndmask_b32_e64 v2, 0, 1, s0
	s_delay_alu instid0(VALU_DEP_1) | instskip(NEXT) | instid1(VALU_DEP_4)
	v_and_or_b32 v16, 0xffe, v3, v2
	v_sub_nc_u32_e32 v2, 0x3f1, v21
	s_delay_alu instid0(VALU_DEP_2) | instskip(NEXT) | instid1(VALU_DEP_2)
	v_or_b32_e32 v3, 0x1000, v16
	v_med3_i32 v2, v2, 0, 13
	s_delay_alu instid0(VALU_DEP_1) | instskip(NEXT) | instid1(VALU_DEP_1)
	v_lshrrev_b32_e32 v22, v2, v3
	v_lshlrev_b32_e32 v2, v2, v22
	s_delay_alu instid0(VALU_DEP_1) | instskip(SKIP_1) | instid1(VALU_DEP_1)
	v_cmp_ne_u32_e64 s1, v2, v3
	v_cvt_f64_f32_e32 v[2:3], v0
	v_mul_f64 v[2:3], v[2:3], s[10:11]
	s_delay_alu instid0(VALU_DEP_1) | instskip(SKIP_2) | instid1(VALU_DEP_3)
	v_and_or_b32 v0, 0x1ff, v3, v2
	v_lshrrev_b32_e32 v2, 8, v3
	v_bfe_u32 v10, v3, 20, 11
	v_cmp_ne_u32_e64 s0, 0, v0
	s_delay_alu instid0(VALU_DEP_1) | instskip(NEXT) | instid1(VALU_DEP_1)
	v_cndmask_b32_e64 v0, 0, 1, s0
	v_and_or_b32 v2, 0xffe, v2, v0
	s_delay_alu instid0(VALU_DEP_4) | instskip(NEXT) | instid1(VALU_DEP_2)
	v_sub_nc_u32_e32 v0, 0x3f1, v10
	v_or_b32_e32 v18, 0x1000, v2
	s_delay_alu instid0(VALU_DEP_2) | instskip(NEXT) | instid1(VALU_DEP_1)
	v_med3_i32 v0, v0, 0, 13
	v_lshrrev_b32_e32 v11, v0, v18
	s_delay_alu instid0(VALU_DEP_1) | instskip(NEXT) | instid1(VALU_DEP_1)
	v_lshlrev_b32_e32 v0, v0, v11
	v_cmp_ne_u32_e64 s0, v0, v18
	v_mul_f16_e32 v18, v24, v20
	scratch_load_b32 v20, off, off offset:100 ; 4-byte Folded Reload
	v_fmac_f16_e32 v18, v23, v14
	scratch_load_b32 v23, off, off offset:96 ; 4-byte Folded Reload
	v_lshrrev_b32_e32 v14, 16, v15
	s_waitcnt vmcnt(1)
	s_delay_alu instid0(VALU_DEP_1) | instskip(SKIP_2) | instid1(VALU_DEP_2)
	v_mul_f16_e32 v0, v20, v14
	v_mul_f16_e32 v20, v20, v15
	s_waitcnt vmcnt(0)
	v_fmac_f16_e32 v0, v23, v15
	s_delay_alu instid0(VALU_DEP_2) | instskip(SKIP_1) | instid1(VALU_DEP_3)
	v_fma_f16 v20, v23, v14, -v20
	v_cvt_f32_f16_e32 v14, v19
	v_cvt_f32_f16_e32 v0, v0
	s_delay_alu instid0(VALU_DEP_2) | instskip(NEXT) | instid1(VALU_DEP_1)
	v_cvt_f64_f32_e32 v[14:15], v14
	v_mul_f64 v[14:15], v[14:15], s[10:11]
	s_delay_alu instid0(VALU_DEP_1) | instskip(SKIP_1) | instid1(VALU_DEP_2)
	v_and_or_b32 v14, 0x1ff, v15, v14
	v_lshrrev_b32_e32 v19, 8, v15
	v_cmp_ne_u32_e64 s2, 0, v14
	s_delay_alu instid0(VALU_DEP_1) | instskip(NEXT) | instid1(VALU_DEP_1)
	v_cndmask_b32_e64 v14, 0, 1, s2
	v_and_or_b32 v14, 0xffe, v19, v14
	v_bfe_u32 v19, v15, 20, 11
	s_delay_alu instid0(VALU_DEP_2) | instskip(NEXT) | instid1(VALU_DEP_2)
	v_or_b32_e32 v24, 0x1000, v14
	v_sub_nc_u32_e32 v23, 0x3f1, v19
	v_add_nc_u32_e32 v19, 0xfffffc10, v19
	v_cmp_ne_u32_e64 s3, 0, v14
	s_delay_alu instid0(VALU_DEP_3) | instskip(NEXT) | instid1(VALU_DEP_1)
	v_med3_i32 v23, v23, 0, 13
	v_lshrrev_b32_e32 v25, v23, v24
	s_delay_alu instid0(VALU_DEP_1) | instskip(NEXT) | instid1(VALU_DEP_1)
	v_lshlrev_b32_e32 v23, v23, v25
	v_cmp_ne_u32_e64 s2, v23, v24
	v_lshl_or_b32 v24, v19, 12, v14
	s_delay_alu instid0(VALU_DEP_2) | instskip(SKIP_1) | instid1(VALU_DEP_2)
	v_cndmask_b32_e64 v23, 0, 1, s2
	v_cmp_gt_i32_e64 s2, 1, v19
	v_or_b32_e32 v23, v25, v23
	s_delay_alu instid0(VALU_DEP_1) | instskip(SKIP_2) | instid1(VALU_DEP_2)
	v_cndmask_b32_e64 v23, v24, v23, s2
	v_cndmask_b32_e64 v24, 0, 1, vcc_lo
	v_cmp_gt_i32_e32 vcc_lo, 1, v7
	v_or_b32_e32 v8, v8, v24
	v_lshl_or_b32 v24, v7, 12, v6
	v_lshrrev_b32_e32 v6, 2, v23
	s_delay_alu instid0(VALU_DEP_2) | instskip(SKIP_1) | instid1(VALU_DEP_2)
	v_cndmask_b32_e32 v8, v24, v8, vcc_lo
	v_and_b32_e32 v24, 7, v23
	v_and_b32_e32 v14, 7, v8
	s_delay_alu instid0(VALU_DEP_2) | instskip(SKIP_2) | instid1(VALU_DEP_4)
	v_cmp_lt_i32_e32 vcc_lo, 5, v24
	v_cmp_eq_u32_e64 s2, 3, v24
	v_lshrrev_b32_e32 v8, 2, v8
	v_cmp_lt_i32_e64 s4, 5, v14
	v_cmp_eq_u32_e64 s5, 3, v14
	s_delay_alu instid0(VALU_DEP_4) | instskip(SKIP_3) | instid1(VALU_DEP_3)
	s_or_b32 vcc_lo, s2, vcc_lo
	v_cndmask_b32_e64 v14, 0, 1, s3
	v_add_co_ci_u32_e32 v6, vcc_lo, 0, v6, vcc_lo
	v_cmp_gt_i32_e32 vcc_lo, 31, v19
	v_lshl_or_b32 v14, v14, 9, 0x7c00
	s_delay_alu instid0(VALU_DEP_3) | instskip(SKIP_1) | instid1(VALU_DEP_2)
	v_cndmask_b32_e32 v6, 0x7c00, v6, vcc_lo
	v_cmp_eq_u32_e32 vcc_lo, 0x40f, v19
	v_cndmask_b32_e32 v6, v6, v14, vcc_lo
	s_or_b32 vcc_lo, s5, s4
	v_lshrrev_b32_e32 v14, 16, v15
	v_add_co_ci_u32_e32 v8, vcc_lo, 0, v8, vcc_lo
	v_cmp_gt_i32_e32 vcc_lo, 31, v7
	v_cndmask_b32_e64 v15, 0, 1, s6
	s_delay_alu instid0(VALU_DEP_4) | instskip(NEXT) | instid1(VALU_DEP_4)
	v_and_or_b32 v6, 0x8000, v14, v6
	v_cndmask_b32_e32 v8, 0x7c00, v8, vcc_lo
	s_delay_alu instid0(VALU_DEP_3) | instskip(SKIP_1) | instid1(VALU_DEP_2)
	v_lshl_or_b32 v15, v15, 9, 0x7c00
	v_cmp_eq_u32_e32 vcc_lo, 0x40f, v7
	v_dual_cndmask_b32 v7, v8, v15 :: v_dual_and_b32 v6, 0xffff, v6
	s_delay_alu instid0(VALU_DEP_1) | instskip(NEXT) | instid1(VALU_DEP_1)
	v_and_or_b32 v1, 0x8000, v1, v7
	v_lshl_or_b32 v1, v1, 16, v6
	v_add_co_u32 v6, vcc_lo, v12, s12
	v_add_co_ci_u32_e32 v7, vcc_lo, s7, v13, vcc_lo
	global_store_b32 v[12:13], v1, off
	v_cvt_f32_f16_e32 v1, v18
	s_delay_alu instid0(VALU_DEP_1) | instskip(NEXT) | instid1(VALU_DEP_1)
	v_cvt_f64_f32_e32 v[12:13], v1
	v_mul_f64 v[12:13], v[12:13], s[10:11]
	s_delay_alu instid0(VALU_DEP_1) | instskip(SKIP_1) | instid1(VALU_DEP_2)
	v_and_or_b32 v1, 0x1ff, v13, v12
	v_lshrrev_b32_e32 v8, 8, v13
	v_cmp_ne_u32_e32 vcc_lo, 0, v1
	v_cndmask_b32_e64 v1, 0, 1, vcc_lo
	s_delay_alu instid0(VALU_DEP_1) | instskip(SKIP_1) | instid1(VALU_DEP_2)
	v_and_or_b32 v1, 0xffe, v8, v1
	v_bfe_u32 v8, v13, 20, 11
	v_or_b32_e32 v14, 0x1000, v1
	s_delay_alu instid0(VALU_DEP_2) | instskip(SKIP_1) | instid1(VALU_DEP_2)
	v_sub_nc_u32_e32 v12, 0x3f1, v8
	v_add_nc_u32_e32 v8, 0xfffffc10, v8
	v_med3_i32 v12, v12, 0, 13
	s_delay_alu instid0(VALU_DEP_1) | instskip(NEXT) | instid1(VALU_DEP_1)
	v_lshrrev_b32_e32 v15, v12, v14
	v_lshlrev_b32_e32 v12, v12, v15
	s_delay_alu instid0(VALU_DEP_1) | instskip(SKIP_3) | instid1(VALU_DEP_2)
	v_cmp_ne_u32_e32 vcc_lo, v12, v14
	v_lshl_or_b32 v14, v8, 12, v1
	v_cndmask_b32_e64 v12, 0, 1, vcc_lo
	v_cmp_gt_i32_e32 vcc_lo, 1, v8
	v_or_b32_e32 v12, v15, v12
	s_delay_alu instid0(VALU_DEP_1) | instskip(NEXT) | instid1(VALU_DEP_1)
	v_cndmask_b32_e32 v12, v14, v12, vcc_lo
	v_and_b32_e32 v14, 7, v12
	v_lshrrev_b32_e32 v12, 2, v12
	s_delay_alu instid0(VALU_DEP_2) | instskip(SKIP_4) | instid1(VALU_DEP_4)
	v_cmp_lt_i32_e32 vcc_lo, 5, v14
	v_cmp_eq_u32_e64 s2, 3, v14
	v_cndmask_b32_e64 v14, 0, 1, s1
	v_cmp_ne_u32_e64 s1, 0, v1
	v_add_nc_u32_e32 v1, 0xfffffc10, v21
	s_or_b32 vcc_lo, s2, vcc_lo
	s_delay_alu instid0(VALU_DEP_3) | instskip(SKIP_1) | instid1(VALU_DEP_3)
	v_or_b32_e32 v14, v22, v14
	v_add_co_ci_u32_e32 v12, vcc_lo, 0, v12, vcc_lo
	v_lshl_or_b32 v15, v1, 12, v16
	v_cmp_gt_i32_e64 s3, 1, v1
	v_cmp_gt_i32_e32 vcc_lo, 31, v8
	v_cmp_ne_u32_e64 s2, 0, v16
	s_delay_alu instid0(VALU_DEP_3) | instskip(SKIP_3) | instid1(VALU_DEP_3)
	v_cndmask_b32_e64 v14, v15, v14, s3
	v_cndmask_b32_e64 v15, 0, 1, s1
	v_cndmask_b32_e32 v12, 0x7c00, v12, vcc_lo
	v_cmp_eq_u32_e32 vcc_lo, 0x40f, v8
	v_lshl_or_b32 v15, v15, 9, 0x7c00
	s_delay_alu instid0(VALU_DEP_1) | instskip(SKIP_2) | instid1(VALU_DEP_2)
	v_cndmask_b32_e32 v8, v12, v15, vcc_lo
	v_lshrrev_b32_e32 v12, 16, v13
	v_and_b32_e32 v13, 7, v14
	v_and_or_b32 v8, 0x8000, v12, v8
	s_delay_alu instid0(VALU_DEP_2) | instskip(SKIP_4) | instid1(VALU_DEP_4)
	v_cmp_lt_i32_e32 vcc_lo, 5, v13
	v_cmp_eq_u32_e64 s1, 3, v13
	v_lshrrev_b32_e32 v13, 2, v14
	v_cndmask_b32_e64 v14, 0, 1, s2
	v_and_b32_e32 v8, 0xffff, v8
	s_or_b32 vcc_lo, s1, vcc_lo
	s_delay_alu instid0(VALU_DEP_3) | instskip(SKIP_2) | instid1(VALU_DEP_3)
	v_add_co_ci_u32_e32 v13, vcc_lo, 0, v13, vcc_lo
	v_cmp_gt_i32_e32 vcc_lo, 31, v1
	v_lshl_or_b32 v14, v14, 9, 0x7c00
	v_cndmask_b32_e32 v13, 0x7c00, v13, vcc_lo
	v_cmp_eq_u32_e32 vcc_lo, 0x40f, v1
	s_delay_alu instid0(VALU_DEP_2)
	v_cndmask_b32_e32 v1, v13, v14, vcc_lo
	v_lshrrev_b32_e32 v13, 16, v17
	v_add_co_u32 v12, vcc_lo, v6, s8
	ds_load_2addr_b32 v[17:18], v242 offset0:28 offset1:118
	v_and_or_b32 v1, 0x8000, v13, v1
	v_add_co_ci_u32_e32 v13, vcc_lo, s9, v7, vcc_lo
	s_delay_alu instid0(VALU_DEP_2) | instskip(SKIP_2) | instid1(VALU_DEP_1)
	v_lshl_or_b32 v1, v1, 16, v8
	global_store_b32 v[6:7], v1, off
	v_cvt_f64_f32_e32 v[5:6], v5
	v_mul_f64 v[5:6], v[5:6], s[10:11]
	s_delay_alu instid0(VALU_DEP_1) | instskip(SKIP_1) | instid1(VALU_DEP_2)
	v_and_or_b32 v1, 0x1ff, v6, v5
	v_lshrrev_b32_e32 v5, 8, v6
	v_cmp_ne_u32_e32 vcc_lo, 0, v1
	v_cndmask_b32_e64 v1, 0, 1, vcc_lo
	s_delay_alu instid0(VALU_DEP_1) | instskip(SKIP_1) | instid1(VALU_DEP_2)
	v_and_or_b32 v1, 0xffe, v5, v1
	v_bfe_u32 v5, v6, 20, 11
	v_or_b32_e32 v8, 0x1000, v1
	s_delay_alu instid0(VALU_DEP_2) | instskip(SKIP_1) | instid1(VALU_DEP_2)
	v_sub_nc_u32_e32 v7, 0x3f1, v5
	v_add_nc_u32_e32 v5, 0xfffffc10, v5
	v_med3_i32 v7, v7, 0, 13
	s_delay_alu instid0(VALU_DEP_1) | instskip(NEXT) | instid1(VALU_DEP_1)
	v_lshrrev_b32_e32 v14, v7, v8
	v_lshlrev_b32_e32 v7, v7, v14
	s_delay_alu instid0(VALU_DEP_1) | instskip(SKIP_3) | instid1(VALU_DEP_2)
	v_cmp_ne_u32_e32 vcc_lo, v7, v8
	v_lshl_or_b32 v8, v5, 12, v1
	v_cndmask_b32_e64 v7, 0, 1, vcc_lo
	v_cmp_gt_i32_e32 vcc_lo, 1, v5
	v_or_b32_e32 v7, v14, v7
	s_delay_alu instid0(VALU_DEP_1) | instskip(SKIP_1) | instid1(VALU_DEP_1)
	v_cndmask_b32_e32 v14, v8, v7, vcc_lo
	v_cvt_f32_f16_e32 v7, v9
	v_cvt_f64_f32_e32 v[7:8], v7
	s_delay_alu instid0(VALU_DEP_1) | instskip(NEXT) | instid1(VALU_DEP_1)
	v_mul_f64 v[7:8], v[7:8], s[10:11]
	v_and_or_b32 v7, 0x1ff, v8, v7
	v_lshrrev_b32_e32 v9, 8, v8
	s_delay_alu instid0(VALU_DEP_2) | instskip(SKIP_1) | instid1(VALU_DEP_1)
	v_cmp_ne_u32_e32 vcc_lo, 0, v7
	v_cndmask_b32_e64 v7, 0, 1, vcc_lo
	v_and_or_b32 v19, 0xffe, v9, v7
	v_and_b32_e32 v7, 7, v14
	s_delay_alu instid0(VALU_DEP_1) | instskip(SKIP_4) | instid1(VALU_DEP_4)
	v_cmp_lt_i32_e32 vcc_lo, 5, v7
	v_cmp_eq_u32_e64 s1, 3, v7
	v_cndmask_b32_e64 v7, 0, 1, s0
	v_cmp_ne_u32_e64 s0, 0, v1
	v_add_nc_u32_e32 v1, 0xfffffc10, v10
	s_or_b32 vcc_lo, s1, vcc_lo
	s_delay_alu instid0(VALU_DEP_3) | instskip(NEXT) | instid1(VALU_DEP_3)
	v_or_b32_e32 v7, v11, v7
	v_cndmask_b32_e64 v10, 0, 1, s0
	s_delay_alu instid0(VALU_DEP_3) | instskip(SKIP_2) | instid1(VALU_DEP_4)
	v_lshl_or_b32 v9, v1, 12, v2
	v_cmp_gt_i32_e64 s2, 1, v1
	v_cmp_ne_u32_e64 s1, 0, v2
	v_lshl_or_b32 v10, v10, 9, 0x7c00
	s_delay_alu instid0(VALU_DEP_3) | instskip(SKIP_1) | instid1(VALU_DEP_2)
	v_cndmask_b32_e64 v7, v9, v7, s2
	v_lshrrev_b32_e32 v9, 2, v14
	v_lshrrev_b32_e32 v2, 2, v7
	s_delay_alu instid0(VALU_DEP_2) | instskip(SKIP_1) | instid1(VALU_DEP_2)
	v_add_co_ci_u32_e32 v9, vcc_lo, 0, v9, vcc_lo
	v_cmp_gt_i32_e32 vcc_lo, 31, v5
	v_cndmask_b32_e32 v9, 0x7c00, v9, vcc_lo
	v_cmp_eq_u32_e32 vcc_lo, 0x40f, v5
	s_delay_alu instid0(VALU_DEP_2) | instskip(SKIP_1) | instid1(VALU_DEP_1)
	v_cndmask_b32_e32 v5, v9, v10, vcc_lo
	v_and_b32_e32 v9, 7, v7
	v_cmp_lt_i32_e32 vcc_lo, 5, v9
	v_cmp_eq_u32_e64 s0, 3, v9
	v_lshrrev_b32_e32 v9, 16, v6
	v_cndmask_b32_e64 v6, 0, 1, s1
	s_delay_alu instid0(VALU_DEP_3) | instskip(SKIP_4) | instid1(VALU_DEP_3)
	s_or_b32 vcc_lo, s0, vcc_lo
	v_add_co_u32 v11, s0, v12, s12
	v_add_co_ci_u32_e32 v2, vcc_lo, 0, v2, vcc_lo
	v_cmp_gt_i32_e32 vcc_lo, 31, v1
	v_lshl_or_b32 v6, v6, 9, 0x7c00
	v_cndmask_b32_e32 v2, 0x7c00, v2, vcc_lo
	v_cmp_eq_u32_e32 vcc_lo, 0x40f, v1
	v_cvt_f32_f16_e32 v1, v20
	v_bfe_u32 v20, v8, 20, 11
	v_lshrrev_b32_e32 v8, 16, v8
	v_cndmask_b32_e32 v10, v2, v6, vcc_lo
	s_delay_alu instid0(VALU_DEP_4) | instskip(NEXT) | instid1(VALU_DEP_1)
	v_cvt_f64_f32_e32 v[1:2], v1
	v_mul_f64 v[6:7], v[1:2], s[10:11]
	v_lshrrev_b32_e32 v1, 16, v3
	v_sub_nc_u32_e32 v3, 0x3f1, v20
	v_and_or_b32 v2, 0x8000, v9, v5
	v_or_b32_e32 v5, 0x1000, v19
	s_delay_alu instid0(VALU_DEP_4) | instskip(NEXT) | instid1(VALU_DEP_4)
	v_and_or_b32 v1, 0x8000, v1, v10
	v_med3_i32 v3, v3, 0, 13
	s_delay_alu instid0(VALU_DEP_4) | instskip(NEXT) | instid1(VALU_DEP_2)
	v_and_b32_e32 v2, 0xffff, v2
	v_lshrrev_b32_e32 v21, v3, v5
	s_delay_alu instid0(VALU_DEP_2) | instskip(NEXT) | instid1(VALU_DEP_2)
	v_lshl_or_b32 v1, v1, 16, v2
	v_lshlrev_b32_e32 v2, v3, v21
	scratch_load_b32 v3, off, off offset:92 ; 4-byte Folded Reload
	global_store_b32 v[12:13], v1, off
	v_add_co_ci_u32_e64 v12, s0, s7, v13, s0
	v_cmp_ne_u32_e32 vcc_lo, v2, v5
	v_and_or_b32 v1, 0x1ff, v7, v6
	scratch_load_b32 v6, off, off offset:88 ; 4-byte Folded Reload
	v_lshrrev_b32_e32 v2, 8, v7
	v_bfe_u32 v15, v7, 20, 11
	v_lshrrev_b32_e32 v7, 16, v7
	v_cmp_ne_u32_e64 s0, 0, v1
	s_delay_alu instid0(VALU_DEP_1) | instskip(NEXT) | instid1(VALU_DEP_1)
	v_cndmask_b32_e64 v1, 0, 1, s0
	v_and_or_b32 v14, 0xffe, v2, v1
	v_sub_nc_u32_e32 v1, 0x3f1, v15
	v_add_nc_u32_e32 v15, 0xfffffc10, v15
	s_delay_alu instid0(VALU_DEP_3) | instskip(NEXT) | instid1(VALU_DEP_3)
	v_or_b32_e32 v2, 0x1000, v14
	v_med3_i32 v1, v1, 0, 13
	s_delay_alu instid0(VALU_DEP_1) | instskip(NEXT) | instid1(VALU_DEP_1)
	v_lshrrev_b32_e32 v16, v1, v2
	v_lshlrev_b32_e32 v1, v1, v16
	s_delay_alu instid0(VALU_DEP_1) | instskip(SKIP_4) | instid1(VALU_DEP_2)
	v_cmp_ne_u32_e64 s1, v1, v2
	s_waitcnt lgkmcnt(0)
	v_lshrrev_b32_e32 v1, 16, v17
	s_waitcnt vmcnt(1)
	v_mul_f16_e32 v2, v3, v17
	v_mul_f16_e32 v3, v3, v1
	s_waitcnt vmcnt(0)
	s_delay_alu instid0(VALU_DEP_1) | instskip(NEXT) | instid1(VALU_DEP_3)
	v_fmac_f16_e32 v3, v6, v17
	v_fma_f16 v5, v6, v1, -v2
	s_delay_alu instid0(VALU_DEP_2) | instskip(NEXT) | instid1(VALU_DEP_1)
	v_cvt_f32_f16_e32 v1, v3
	v_cvt_f64_f32_e32 v[1:2], v1
	s_delay_alu instid0(VALU_DEP_1) | instskip(NEXT) | instid1(VALU_DEP_1)
	v_mul_f64 v[1:2], v[1:2], s[10:11]
	v_and_or_b32 v1, 0x1ff, v2, v1
	v_lshrrev_b32_e32 v3, 8, v2
	v_bfe_u32 v9, v2, 20, 11
	s_delay_alu instid0(VALU_DEP_3) | instskip(NEXT) | instid1(VALU_DEP_1)
	v_cmp_ne_u32_e64 s0, 0, v1
	v_cndmask_b32_e64 v1, 0, 1, s0
	s_delay_alu instid0(VALU_DEP_1) | instskip(NEXT) | instid1(VALU_DEP_4)
	v_and_or_b32 v3, 0xffe, v3, v1
	v_sub_nc_u32_e32 v1, 0x3f1, v9
	s_delay_alu instid0(VALU_DEP_2) | instskip(NEXT) | instid1(VALU_DEP_2)
	v_or_b32_e32 v6, 0x1000, v3
	v_med3_i32 v1, v1, 0, 13
	s_delay_alu instid0(VALU_DEP_1) | instskip(NEXT) | instid1(VALU_DEP_1)
	v_lshrrev_b32_e32 v10, v1, v6
	v_lshlrev_b32_e32 v1, v1, v10
	s_delay_alu instid0(VALU_DEP_1) | instskip(SKIP_1) | instid1(VALU_DEP_1)
	v_cmp_ne_u32_e64 s0, v1, v6
	v_cvt_f32_f16_e32 v1, v5
	v_cvt_f64_f32_e32 v[5:6], v1
	s_delay_alu instid0(VALU_DEP_1) | instskip(NEXT) | instid1(VALU_DEP_1)
	v_mul_f64 v[5:6], v[5:6], s[10:11]
	v_and_or_b32 v1, 0x1ff, v6, v5
	v_lshrrev_b32_e32 v5, 8, v6
	v_bfe_u32 v17, v6, 20, 11
	s_delay_alu instid0(VALU_DEP_3) | instskip(NEXT) | instid1(VALU_DEP_1)
	v_cmp_ne_u32_e64 s2, 0, v1
	v_cndmask_b32_e64 v1, 0, 1, s2
	s_delay_alu instid0(VALU_DEP_1) | instskip(NEXT) | instid1(VALU_DEP_4)
	v_and_or_b32 v13, 0xffe, v5, v1
	v_sub_nc_u32_e32 v1, 0x3f1, v17
	s_delay_alu instid0(VALU_DEP_2) | instskip(NEXT) | instid1(VALU_DEP_2)
	v_or_b32_e32 v5, 0x1000, v13
	v_med3_i32 v1, v1, 0, 13
	s_delay_alu instid0(VALU_DEP_1) | instskip(NEXT) | instid1(VALU_DEP_1)
	v_lshrrev_b32_e32 v23, v1, v5
	v_lshlrev_b32_e32 v1, v1, v23
	s_delay_alu instid0(VALU_DEP_1) | instskip(SKIP_1) | instid1(VALU_DEP_1)
	v_cmp_ne_u32_e64 s2, v1, v5
	v_cvt_f32_f16_e32 v1, v4
	v_cvt_f64_f32_e32 v[4:5], v1
	s_delay_alu instid0(VALU_DEP_1) | instskip(NEXT) | instid1(VALU_DEP_1)
	v_mul_f64 v[4:5], v[4:5], s[10:11]
	v_and_or_b32 v1, 0x1ff, v5, v4
	v_lshrrev_b32_e32 v4, 8, v5
	s_delay_alu instid0(VALU_DEP_2) | instskip(NEXT) | instid1(VALU_DEP_1)
	v_cmp_ne_u32_e64 s3, 0, v1
	v_cndmask_b32_e64 v1, 0, 1, s3
	s_delay_alu instid0(VALU_DEP_1) | instskip(SKIP_2) | instid1(VALU_DEP_3)
	v_and_or_b32 v1, 0xffe, v4, v1
	v_bfe_u32 v4, v5, 20, 11
	v_lshrrev_b32_e32 v5, 16, v5
	v_or_b32_e32 v24, 0x1000, v1
	s_delay_alu instid0(VALU_DEP_3) | instskip(SKIP_1) | instid1(VALU_DEP_2)
	v_sub_nc_u32_e32 v22, 0x3f1, v4
	v_add_nc_u32_e32 v4, 0xfffffc10, v4
	v_med3_i32 v22, v22, 0, 13
	s_delay_alu instid0(VALU_DEP_1) | instskip(NEXT) | instid1(VALU_DEP_1)
	v_lshrrev_b32_e32 v25, v22, v24
	v_lshlrev_b32_e32 v22, v22, v25
	s_delay_alu instid0(VALU_DEP_1) | instskip(SKIP_1) | instid1(VALU_DEP_2)
	v_cmp_ne_u32_e64 s3, v22, v24
	v_lshl_or_b32 v24, v4, 12, v1
	v_cndmask_b32_e64 v22, 0, 1, s3
	v_cmp_gt_i32_e64 s3, 1, v4
	s_delay_alu instid0(VALU_DEP_2) | instskip(SKIP_1) | instid1(VALU_DEP_2)
	v_or_b32_e32 v22, v25, v22
	v_lshrrev_b32_e32 v25, 16, v18
	v_cndmask_b32_e64 v22, v24, v22, s3
	s_delay_alu instid0(VALU_DEP_1) | instskip(NEXT) | instid1(VALU_DEP_1)
	v_and_b32_e32 v24, 7, v22
	v_cmp_lt_i32_e64 s3, 5, v24
	v_cmp_eq_u32_e64 s4, 3, v24
	v_cndmask_b32_e64 v24, 0, 1, vcc_lo
	v_cmp_ne_u32_e32 vcc_lo, 0, v1
	v_add_nc_u32_e32 v1, 0xfffffc10, v20
	s_delay_alu instid0(VALU_DEP_4) | instskip(NEXT) | instid1(VALU_DEP_3)
	s_or_b32 s3, s4, s3
	v_or_b32_e32 v21, v21, v24
	v_cmp_ne_u32_e64 s4, 0, v19
	s_delay_alu instid0(VALU_DEP_3) | instskip(SKIP_1) | instid1(VALU_DEP_1)
	v_lshl_or_b32 v20, v1, 12, v19
	v_cmp_gt_i32_e64 s5, 1, v1
	v_cndmask_b32_e64 v20, v20, v21, s5
	v_lshrrev_b32_e32 v21, 2, v22
	v_cndmask_b32_e64 v22, 0, 1, vcc_lo
	v_cmp_eq_u32_e32 vcc_lo, 0x40f, v4
	s_delay_alu instid0(VALU_DEP_4) | instskip(NEXT) | instid1(VALU_DEP_4)
	v_lshrrev_b32_e32 v19, 2, v20
	v_add_co_ci_u32_e64 v21, s3, 0, v21, s3
	v_cmp_gt_i32_e64 s3, 31, v4
	v_lshl_or_b32 v22, v22, 9, 0x7c00
	s_delay_alu instid0(VALU_DEP_2) | instskip(NEXT) | instid1(VALU_DEP_1)
	v_cndmask_b32_e64 v21, 0x7c00, v21, s3
	v_dual_cndmask_b32 v4, v21, v22 :: v_dual_and_b32 v21, 7, v20
	v_cndmask_b32_e64 v20, 0, 1, s4
	s_delay_alu instid0(VALU_DEP_2) | instskip(NEXT) | instid1(VALU_DEP_3)
	v_and_or_b32 v4, 0x8000, v5, v4
	v_cmp_lt_i32_e32 vcc_lo, 5, v21
	v_cmp_eq_u32_e64 s3, 3, v21
	s_delay_alu instid0(VALU_DEP_4)
	v_lshl_or_b32 v20, v20, 9, 0x7c00
	ds_load_2addr_b32 v[21:22], v119 offset0:160 offset1:250
	v_and_b32_e32 v4, 0xffff, v4
	s_or_b32 vcc_lo, s3, vcc_lo
	v_add_co_ci_u32_e32 v19, vcc_lo, 0, v19, vcc_lo
	v_cmp_gt_i32_e32 vcc_lo, 31, v1
	s_delay_alu instid0(VALU_DEP_2) | instskip(SKIP_1) | instid1(VALU_DEP_2)
	v_cndmask_b32_e32 v19, 0x7c00, v19, vcc_lo
	v_cmp_eq_u32_e32 vcc_lo, 0x40f, v1
	v_cndmask_b32_e32 v1, v19, v20, vcc_lo
	v_add_co_u32 v19, vcc_lo, v11, s12
	s_waitcnt lgkmcnt(0)
	v_lshrrev_b32_e32 v24, 16, v21
	v_add_co_ci_u32_e32 v20, vcc_lo, s7, v12, vcc_lo
	v_and_or_b32 v1, 0x8000, v8, v1
	s_delay_alu instid0(VALU_DEP_1) | instskip(SKIP_2) | instid1(VALU_DEP_1)
	v_lshl_or_b32 v1, v1, 16, v4
	global_store_b32 v[11:12], v1, off
	v_mul_f16_e32 v1, v32, v21
	v_fma_f16 v1, v31, v24, -v1
	s_delay_alu instid0(VALU_DEP_1) | instskip(NEXT) | instid1(VALU_DEP_1)
	v_cvt_f32_f16_e32 v1, v1
	v_cvt_f64_f32_e32 v[4:5], v1
	s_delay_alu instid0(VALU_DEP_1) | instskip(NEXT) | instid1(VALU_DEP_1)
	v_mul_f64 v[4:5], v[4:5], s[10:11]
	v_and_or_b32 v1, 0x1ff, v5, v4
	v_lshrrev_b32_e32 v4, 8, v5
	v_bfe_u32 v11, v5, 20, 11
	v_lshrrev_b32_e32 v5, 16, v5
	s_delay_alu instid0(VALU_DEP_4) | instskip(SKIP_1) | instid1(VALU_DEP_1)
	v_cmp_ne_u32_e32 vcc_lo, 0, v1
	v_cndmask_b32_e64 v1, 0, 1, vcc_lo
	v_and_or_b32 v8, 0xffe, v4, v1
	v_sub_nc_u32_e32 v1, 0x3f1, v11
	s_delay_alu instid0(VALU_DEP_2) | instskip(NEXT) | instid1(VALU_DEP_2)
	v_or_b32_e32 v4, 0x1000, v8
	v_med3_i32 v1, v1, 0, 13
	s_delay_alu instid0(VALU_DEP_1) | instskip(NEXT) | instid1(VALU_DEP_1)
	v_lshrrev_b32_e32 v12, v1, v4
	v_lshlrev_b32_e32 v1, v1, v12
	s_delay_alu instid0(VALU_DEP_1) | instskip(SKIP_3) | instid1(VALU_DEP_1)
	v_cmp_ne_u32_e32 vcc_lo, v1, v4
	scratch_load_b32 v1, off, off offset:76 ; 4-byte Folded Reload
	s_waitcnt vmcnt(0)
	v_mul_f16_e32 v26, v1, v25
	v_fmac_f16_e32 v26, v30, v18
	v_mul_f16_e32 v18, v1, v18
	v_cvt_f64_f32_e32 v[0:1], v0
	s_delay_alu instid0(VALU_DEP_1) | instskip(NEXT) | instid1(VALU_DEP_1)
	v_mul_f64 v[0:1], v[0:1], s[10:11]
	v_and_or_b32 v0, 0x1ff, v1, v0
	v_lshrrev_b32_e32 v4, 8, v1
	s_delay_alu instid0(VALU_DEP_2) | instskip(NEXT) | instid1(VALU_DEP_1)
	v_cmp_ne_u32_e64 s3, 0, v0
	v_cndmask_b32_e64 v0, 0, 1, s3
	s_delay_alu instid0(VALU_DEP_1) | instskip(SKIP_2) | instid1(VALU_DEP_3)
	v_and_or_b32 v0, 0xffe, v4, v0
	v_bfe_u32 v4, v1, 20, 11
	v_lshrrev_b32_e32 v1, 16, v1
	v_or_b32_e32 v28, 0x1000, v0
	s_delay_alu instid0(VALU_DEP_3) | instskip(SKIP_2) | instid1(VALU_DEP_3)
	v_sub_nc_u32_e32 v27, 0x3f1, v4
	v_add_nc_u32_e32 v4, 0xfffffc10, v4
	v_cmp_ne_u32_e64 s4, 0, v0
	v_med3_i32 v27, v27, 0, 13
	s_delay_alu instid0(VALU_DEP_1) | instskip(NEXT) | instid1(VALU_DEP_1)
	v_lshrrev_b32_e32 v29, v27, v28
	v_lshlrev_b32_e32 v27, v27, v29
	s_delay_alu instid0(VALU_DEP_1) | instskip(SKIP_1) | instid1(VALU_DEP_2)
	v_cmp_ne_u32_e64 s3, v27, v28
	v_lshl_or_b32 v28, v4, 12, v0
	v_cndmask_b32_e64 v27, 0, 1, s3
	v_cmp_gt_i32_e64 s3, 1, v4
	s_delay_alu instid0(VALU_DEP_2) | instskip(NEXT) | instid1(VALU_DEP_1)
	v_or_b32_e32 v27, v29, v27
	v_cndmask_b32_e64 v27, v28, v27, s3
	v_cndmask_b32_e64 v28, 0, 1, s1
	v_cmp_gt_i32_e64 s1, 1, v15
	s_delay_alu instid0(VALU_DEP_2) | instskip(SKIP_1) | instid1(VALU_DEP_1)
	v_or_b32_e32 v16, v16, v28
	v_lshl_or_b32 v28, v15, 12, v14
	v_cndmask_b32_e64 v16, v28, v16, s1
	v_and_b32_e32 v28, 7, v27
	s_delay_alu instid0(VALU_DEP_2) | instskip(NEXT) | instid1(VALU_DEP_2)
	v_and_b32_e32 v0, 7, v16
	v_cmp_lt_i32_e64 s1, 5, v28
	v_cmp_eq_u32_e64 s3, 3, v28
	s_delay_alu instid0(VALU_DEP_3) | instskip(SKIP_2) | instid1(VALU_DEP_4)
	v_cmp_lt_i32_e64 s5, 5, v0
	v_cmp_eq_u32_e64 s6, 3, v0
	v_lshrrev_b32_e32 v0, 2, v27
	s_or_b32 s1, s3, s1
	v_cndmask_b32_e64 v27, 0, 1, s4
	s_delay_alu instid0(VALU_DEP_3) | instskip(NEXT) | instid1(VALU_DEP_2)
	s_or_b32 s3, s6, s5
	v_add_co_ci_u32_e64 v0, s1, 0, v0, s1
	v_cmp_gt_i32_e64 s1, 31, v4
	s_delay_alu instid0(VALU_DEP_3) | instskip(NEXT) | instid1(VALU_DEP_2)
	v_lshl_or_b32 v27, v27, 9, 0x7c00
	v_cndmask_b32_e64 v0, 0x7c00, v0, s1
	v_cmp_eq_u32_e64 s1, 0x40f, v4
	v_lshrrev_b32_e32 v4, 2, v16
	scratch_load_b32 v16, off, off offset:64 ; 4-byte Folded Reload
	v_cndmask_b32_e64 v0, v0, v27, s1
	v_cmp_ne_u32_e64 s1, 0, v14
	v_add_co_ci_u32_e64 v4, s3, 0, v4, s3
	v_cmp_gt_i32_e64 s3, 31, v15
	s_delay_alu instid0(VALU_DEP_4) | instskip(NEXT) | instid1(VALU_DEP_4)
	v_and_or_b32 v0, 0x8000, v1, v0
	v_cndmask_b32_e64 v14, 0, 1, s1
	v_cmp_eq_u32_e64 s1, 0x40f, v15
	scratch_load_b32 v15, off, off offset:68 ; 4-byte Folded Reload
	v_cndmask_b32_e64 v4, 0x7c00, v4, s3
	v_and_b32_e32 v0, 0xffff, v0
	v_lshl_or_b32 v14, v14, 9, 0x7c00
	s_delay_alu instid0(VALU_DEP_1) | instskip(SKIP_1) | instid1(VALU_DEP_2)
	v_cndmask_b32_e64 v4, v4, v14, s1
	v_mul_f16_e32 v14, v32, v24
	v_and_or_b32 v1, 0x8000, v7, v4
	s_delay_alu instid0(VALU_DEP_2)
	v_fmac_f16_e32 v14, v31, v21
	scratch_load_b32 v21, off, off offset:56 ; 4-byte Folded Reload
	v_lshl_or_b32 v0, v1, 16, v0
	global_store_b32 v[19:20], v0, off
	ds_load_2addr_b32 v[0:1], v178 offset0:36 offset1:126
	s_waitcnt lgkmcnt(0)
	v_lshrrev_b32_e32 v4, 16, v0
	s_waitcnt vmcnt(1)
	v_mul_f16_e32 v7, v15, v0
	s_delay_alu instid0(VALU_DEP_2) | instskip(NEXT) | instid1(VALU_DEP_2)
	v_mul_f16_e32 v15, v15, v4
	v_fma_f16 v4, v16, v4, -v7
	s_delay_alu instid0(VALU_DEP_2) | instskip(SKIP_2) | instid1(VALU_DEP_4)
	v_fmac_f16_e32 v15, v16, v0
	v_cndmask_b32_e64 v0, 0, 1, s0
	v_add_nc_u32_e32 v7, 0xfffffc10, v9
	v_cvt_f32_f16_e32 v4, v4
	s_delay_alu instid0(VALU_DEP_3) | instskip(NEXT) | instid1(VALU_DEP_3)
	v_or_b32_e32 v0, v10, v0
	v_lshl_or_b32 v9, v7, 12, v3
	v_cmp_gt_i32_e64 s0, 1, v7
	v_add_nc_u32_e32 v10, 0xfffffc10, v17
	s_delay_alu instid0(VALU_DEP_2) | instskip(SKIP_1) | instid1(VALU_DEP_3)
	v_cndmask_b32_e64 v0, v9, v0, s0
	v_cndmask_b32_e64 v9, 0, 1, s2
	v_lshl_or_b32 v16, v10, 12, v13
	v_cmp_gt_i32_e64 s0, 1, v10
	v_cmp_ne_u32_e64 s2, 0, v3
	s_delay_alu instid0(VALU_DEP_4) | instskip(NEXT) | instid1(VALU_DEP_1)
	v_or_b32_e32 v9, v23, v9
	v_cndmask_b32_e64 v9, v16, v9, s0
	v_and_b32_e32 v16, 7, v0
	v_lshrrev_b32_e32 v0, 2, v0
	s_delay_alu instid0(VALU_DEP_3) | instskip(NEXT) | instid1(VALU_DEP_3)
	v_and_b32_e32 v3, 7, v9
	v_cmp_lt_i32_e64 s0, 5, v16
	v_cmp_eq_u32_e64 s1, 3, v16
	s_delay_alu instid0(VALU_DEP_3) | instskip(SKIP_1) | instid1(VALU_DEP_3)
	v_cmp_lt_i32_e64 s3, 5, v3
	v_cmp_eq_u32_e64 s4, 3, v3
	s_or_b32 s0, s1, s0
	v_cndmask_b32_e64 v3, 0, 1, s2
	v_add_co_ci_u32_e64 v0, s0, 0, v0, s0
	v_cmp_gt_i32_e64 s0, 31, v7
	s_delay_alu instid0(VALU_DEP_3) | instskip(NEXT) | instid1(VALU_DEP_2)
	v_lshl_or_b32 v3, v3, 9, 0x7c00
	v_cndmask_b32_e64 v0, 0x7c00, v0, s0
	v_cmp_eq_u32_e64 s0, 0x40f, v7
	v_lshrrev_b32_e32 v7, 16, v2
	v_lshrrev_b32_e32 v2, 2, v9
	s_delay_alu instid0(VALU_DEP_3)
	v_cndmask_b32_e64 v0, v0, v3, s0
	s_or_b32 s0, s4, s3
	s_delay_alu instid0(VALU_DEP_2) | instid1(SALU_CYCLE_1)
	v_add_co_ci_u32_e64 v2, s0, 0, v2, s0
	v_cmp_ne_u32_e64 s0, 0, v13
	s_delay_alu instid0(VALU_DEP_3) | instskip(NEXT) | instid1(VALU_DEP_2)
	v_and_or_b32 v0, 0x8000, v7, v0
	v_cndmask_b32_e64 v3, 0, 1, s0
	v_cmp_gt_i32_e64 s0, 31, v10
	s_delay_alu instid0(VALU_DEP_3) | instskip(NEXT) | instid1(VALU_DEP_3)
	v_and_b32_e32 v0, 0xffff, v0
	v_lshl_or_b32 v13, v3, 9, 0x7c00
	s_delay_alu instid0(VALU_DEP_3) | instskip(SKIP_3) | instid1(VALU_DEP_2)
	v_cndmask_b32_e64 v9, 0x7c00, v2, s0
	v_cvt_f64_f32_e32 v[2:3], v4
	v_cmp_eq_u32_e64 s0, 0x40f, v10
	v_cvt_f32_f16_e32 v4, v14
	v_cndmask_b32_e64 v16, v9, v13, s0
	s_delay_alu instid0(VALU_DEP_2) | instskip(SKIP_4) | instid1(VALU_DEP_1)
	v_cvt_f64_f32_e32 v[9:10], v4
	v_mul_f64 v[13:14], v[2:3], s[10:11]
	v_cvt_f32_f16_e32 v2, v15
	v_lshrrev_b32_e32 v15, 16, v6
	v_add_co_u32 v3, s0, v19, s8
	v_add_co_ci_u32_e64 v4, s0, s9, v20, s0
	s_delay_alu instid0(VALU_DEP_4) | instskip(NEXT) | instid1(VALU_DEP_4)
	v_cvt_f64_f32_e32 v[6:7], v2
	v_and_or_b32 v2, 0x8000, v15, v16
	v_fma_f16 v15, v30, v25, -v18
	v_mul_f64 v[9:10], v[9:10], s[10:11]
	v_lshrrev_b32_e32 v16, 16, v22
	s_delay_alu instid0(VALU_DEP_4) | instskip(NEXT) | instid1(VALU_DEP_4)
	v_lshl_or_b32 v0, v2, 16, v0
	v_cvt_f32_f16_e32 v15, v15
	global_store_b32 v[3:4], v0, off
	v_and_or_b32 v13, 0x1ff, v14, v13
	v_bfe_u32 v17, v14, 20, 11
	s_delay_alu instid0(VALU_DEP_2) | instskip(SKIP_2) | instid1(VALU_DEP_3)
	v_cmp_ne_u32_e64 s0, 0, v13
	v_lshrrev_b32_e32 v13, 8, v14
	v_mul_f64 v[6:7], v[6:7], s[10:11]
	v_cndmask_b32_e64 v2, 0, 1, s0
	v_add_co_u32 v3, s0, v3, s12
	s_delay_alu instid0(VALU_DEP_1) | instskip(NEXT) | instid1(VALU_DEP_3)
	v_add_co_ci_u32_e64 v4, s0, s7, v4, s0
	v_and_or_b32 v2, 0xffe, v13, v2
	v_sub_nc_u32_e32 v13, 0x3f1, v17
	v_lshrrev_b32_e32 v19, 8, v10
	v_bfe_u32 v20, v10, 20, 11
	v_add_nc_u32_e32 v17, 0xfffffc10, v17
	s_delay_alu instid0(VALU_DEP_4) | instskip(SKIP_1) | instid1(VALU_DEP_1)
	v_med3_i32 v0, v13, 0, 13
	v_or_b32_e32 v13, 0x1000, v2
	v_lshrrev_b32_e32 v18, v0, v13
	s_delay_alu instid0(VALU_DEP_1) | instskip(NEXT) | instid1(VALU_DEP_1)
	v_lshlrev_b32_e32 v0, v0, v18
	v_cmp_ne_u32_e64 s0, v0, v13
	scratch_load_b32 v13, off, off offset:60 ; 4-byte Folded Reload
	v_and_or_b32 v0, 0x1ff, v10, v9
	v_lshrrev_b32_e32 v10, 16, v10
	s_delay_alu instid0(VALU_DEP_2) | instskip(SKIP_2) | instid1(VALU_DEP_3)
	v_cmp_ne_u32_e64 s1, 0, v0
	v_and_or_b32 v6, 0x1ff, v7, v6
	v_lshrrev_b32_e32 v23, 16, v7
	v_cndmask_b32_e64 v0, 0, 1, s1
	s_delay_alu instid0(VALU_DEP_1) | instskip(SKIP_1) | instid1(VALU_DEP_1)
	v_and_or_b32 v0, 0xffe, v19, v0
	v_sub_nc_u32_e32 v19, 0x3f1, v20
	v_med3_i32 v19, v19, 0, 13
	s_waitcnt vmcnt(0)
	v_mul_f16_e32 v9, v13, v16
	v_mul_f16_e32 v13, v13, v22
	s_delay_alu instid0(VALU_DEP_2) | instskip(NEXT) | instid1(VALU_DEP_2)
	v_fmac_f16_e32 v9, v21, v22
	v_fma_f16 v13, v21, v16, -v13
	v_or_b32_e32 v16, 0x1000, v0
	s_delay_alu instid0(VALU_DEP_3) | instskip(NEXT) | instid1(VALU_DEP_3)
	v_cvt_f32_f16_e32 v9, v9
	v_cvt_f32_f16_e32 v13, v13
	s_delay_alu instid0(VALU_DEP_3) | instskip(NEXT) | instid1(VALU_DEP_1)
	v_lshrrev_b32_e32 v21, v19, v16
	v_lshlrev_b32_e32 v19, v19, v21
	s_delay_alu instid0(VALU_DEP_1) | instskip(SKIP_1) | instid1(VALU_DEP_2)
	v_cmp_ne_u32_e64 s1, v19, v16
	v_add_nc_u32_e32 v19, 0xfffffc10, v20
	v_cndmask_b32_e64 v16, 0, 1, s1
	v_cmp_ne_u32_e64 s1, 0, v6
	s_delay_alu instid0(VALU_DEP_3) | instskip(NEXT) | instid1(VALU_DEP_3)
	v_lshl_or_b32 v20, v19, 12, v0
	v_or_b32_e32 v16, v21, v16
	s_delay_alu instid0(VALU_DEP_3) | instskip(SKIP_2) | instid1(VALU_DEP_2)
	v_cndmask_b32_e64 v6, 0, 1, s1
	v_cmp_gt_i32_e64 s1, 1, v19
	v_add_nc_u32_e32 v21, 0xfffffc10, v11
	v_cndmask_b32_e64 v16, v20, v16, s1
	v_lshrrev_b32_e32 v20, 8, v7
	s_delay_alu instid0(VALU_DEP_1) | instskip(NEXT) | instid1(VALU_DEP_3)
	v_and_or_b32 v6, 0xffe, v20, v6
	v_and_b32_e32 v20, 7, v16
	v_lshrrev_b32_e32 v16, 2, v16
	s_delay_alu instid0(VALU_DEP_2) | instskip(SKIP_3) | instid1(VALU_DEP_2)
	v_cmp_lt_i32_e64 s1, 5, v20
	v_cmp_eq_u32_e64 s2, 3, v20
	v_cndmask_b32_e64 v20, 0, 1, vcc_lo
	v_cmp_gt_i32_e32 vcc_lo, 1, v21
	v_or_b32_e32 v11, v12, v20
	v_lshl_or_b32 v12, v21, 12, v8
	v_cvt_f32_f16_e32 v20, v26
	s_delay_alu instid0(VALU_DEP_2) | instskip(SKIP_1) | instid1(VALU_DEP_2)
	v_cndmask_b32_e32 v22, v12, v11, vcc_lo
	s_or_b32 vcc_lo, s2, s1
	v_cvt_f64_f32_e32 v[11:12], v20
	v_add_co_ci_u32_e32 v16, vcc_lo, 0, v16, vcc_lo
	v_cmp_ne_u32_e32 vcc_lo, 0, v0
	v_cndmask_b32_e64 v0, 0, 1, vcc_lo
	v_cmp_gt_i32_e32 vcc_lo, 31, v19
	s_delay_alu instid0(VALU_DEP_2) | instskip(SKIP_3) | instid1(VALU_DEP_3)
	v_lshl_or_b32 v0, v0, 9, 0x7c00
	v_cndmask_b32_e32 v20, 0x7c00, v16, vcc_lo
	v_cvt_f64_f32_e32 v[15:16], v15
	v_cmp_eq_u32_e32 vcc_lo, 0x40f, v19
	v_dual_cndmask_b32 v0, v20, v0 :: v_dual_and_b32 v19, 7, v22
	s_delay_alu instid0(VALU_DEP_1) | instskip(SKIP_4) | instid1(VALU_DEP_4)
	v_cmp_lt_i32_e32 vcc_lo, 5, v19
	v_cmp_eq_u32_e64 s1, 3, v19
	v_lshrrev_b32_e32 v20, 2, v22
	v_bfe_u32 v19, v7, 20, 11
	v_and_or_b32 v0, 0x8000, v10, v0
	s_or_b32 vcc_lo, s1, vcc_lo
	s_delay_alu instid0(VALU_DEP_3)
	v_add_co_ci_u32_e32 v20, vcc_lo, 0, v20, vcc_lo
	v_cmp_ne_u32_e32 vcc_lo, 0, v8
	v_sub_nc_u32_e32 v22, 0x3f1, v19
	v_add_nc_u32_e32 v19, 0xfffffc10, v19
	v_and_b32_e32 v0, 0xffff, v0
	v_cndmask_b32_e64 v8, 0, 1, vcc_lo
	v_mul_f64 v[11:12], v[11:12], s[10:11]
	v_cmp_gt_i32_e32 vcc_lo, 31, v21
	v_med3_i32 v22, v22, 0, 13
	s_delay_alu instid0(VALU_DEP_4) | instskip(SKIP_3) | instid1(VALU_DEP_3)
	v_lshl_or_b32 v8, v8, 9, 0x7c00
	v_cndmask_b32_e32 v20, 0x7c00, v20, vcc_lo
	v_cmp_eq_u32_e32 vcc_lo, 0x40f, v21
	v_or_b32_e32 v21, 0x1000, v6
	v_cndmask_b32_e32 v8, v20, v8, vcc_lo
	s_delay_alu instid0(VALU_DEP_2) | instskip(SKIP_1) | instid1(VALU_DEP_3)
	v_lshrrev_b32_e32 v20, v22, v21
	v_mul_f64 v[15:16], v[15:16], s[10:11]
	v_and_or_b32 v5, 0x8000, v5, v8
	s_delay_alu instid0(VALU_DEP_3) | instskip(SKIP_1) | instid1(VALU_DEP_3)
	v_lshlrev_b32_e32 v22, v22, v20
	v_lshl_or_b32 v8, v19, 12, v6
	v_lshl_or_b32 v0, v5, 16, v0
	v_cndmask_b32_e64 v5, 0, 1, s0
	global_store_b32 v[3:4], v0, off
	v_and_or_b32 v11, 0x1ff, v12, v11
	s_delay_alu instid0(VALU_DEP_1)
	v_cmp_ne_u32_e32 vcc_lo, 0, v11
	v_cndmask_b32_e64 v11, 0, 1, vcc_lo
	v_cmp_ne_u32_e32 vcc_lo, v22, v21
	v_lshrrev_b32_e32 v22, 8, v12
	v_and_or_b32 v10, 0x1ff, v16, v15
	v_cndmask_b32_e64 v21, 0, 1, vcc_lo
	s_delay_alu instid0(VALU_DEP_3) | instskip(NEXT) | instid1(VALU_DEP_3)
	v_and_or_b32 v11, 0xffe, v22, v11
	v_cmp_ne_u32_e32 vcc_lo, 0, v10
	s_delay_alu instid0(VALU_DEP_3) | instskip(SKIP_3) | instid1(VALU_DEP_3)
	v_or_b32_e32 v15, v20, v21
	v_bfe_u32 v20, v12, 20, 11
	v_cndmask_b32_e64 v10, 0, 1, vcc_lo
	v_cmp_gt_i32_e32 vcc_lo, 1, v19
	v_sub_nc_u32_e32 v21, 0x3f1, v20
	v_add_nc_u32_e32 v20, 0xfffffc10, v20
	v_cndmask_b32_e32 v8, v8, v15, vcc_lo
	v_lshrrev_b32_e32 v15, 8, v16
	s_delay_alu instid0(VALU_DEP_4) | instskip(NEXT) | instid1(VALU_DEP_2)
	v_med3_i32 v21, v21, 0, 13
	v_and_or_b32 v15, 0xffe, v15, v10
	s_delay_alu instid0(VALU_DEP_4) | instskip(NEXT) | instid1(VALU_DEP_1)
	v_and_b32_e32 v10, 7, v8
	v_cmp_lt_i32_e32 vcc_lo, 5, v10
	v_cmp_eq_u32_e64 s0, 3, v10
	v_or_b32_e32 v10, v18, v5
	v_lshrrev_b32_e32 v5, 2, v8
	v_lshl_or_b32 v8, v17, 12, v2
	s_delay_alu instid0(VALU_DEP_4) | instskip(NEXT) | instid1(VALU_DEP_2)
	s_or_b32 vcc_lo, s0, vcc_lo
	v_add_co_ci_u32_e32 v18, vcc_lo, 0, v5, vcc_lo
	v_cmp_ne_u32_e32 vcc_lo, 0, v6
	v_cvt_f64_f32_e32 v[5:6], v9
	v_cndmask_b32_e64 v22, 0, 1, vcc_lo
	v_cmp_gt_i32_e32 vcc_lo, 1, v17
	v_cndmask_b32_e32 v9, v8, v10, vcc_lo
	v_or_b32_e32 v8, 0x1000, v11
	v_cmp_gt_i32_e32 vcc_lo, 31, v19
	v_cndmask_b32_e32 v10, 0x7c00, v18, vcc_lo
	v_cmp_eq_u32_e32 vcc_lo, 0x40f, v19
	s_delay_alu instid0(VALU_DEP_4) | instskip(SKIP_1) | instid1(VALU_DEP_1)
	v_lshrrev_b32_e32 v19, v21, v8
	v_lshl_or_b32 v18, v22, 9, 0x7c00
	v_dual_cndmask_b32 v10, v10, v18 :: v_dual_lshlrev_b32 v21, v21, v19
	v_and_b32_e32 v18, 7, v9
	v_lshrrev_b32_e32 v9, 2, v9
	s_delay_alu instid0(VALU_DEP_3) | instskip(SKIP_1) | instid1(VALU_DEP_4)
	v_cmp_ne_u32_e64 s1, v21, v8
	v_cvt_f64_f32_e32 v[7:8], v13
	v_cmp_lt_i32_e32 vcc_lo, 5, v18
	v_cmp_eq_u32_e64 s0, 3, v18
	v_bfe_u32 v18, v16, 20, 11
	v_cndmask_b32_e64 v21, 0, 1, s1
	v_cmp_gt_i32_e64 s1, 1, v20
	v_and_or_b32 v10, 0x8000, v23, v10
	s_or_b32 vcc_lo, s0, vcc_lo
	v_sub_nc_u32_e32 v22, 0x3f1, v18
	v_add_co_ci_u32_e32 v9, vcc_lo, 0, v9, vcc_lo
	v_or_b32_e32 v13, v19, v21
	v_lshl_or_b32 v19, v20, 12, v11
	v_cmp_ne_u32_e32 vcc_lo, 0, v2
	v_med3_i32 v21, v22, 0, 13
	scratch_load_b32 v22, off, off offset:48 ; 4-byte Folded Reload
	v_mul_f64 v[5:6], v[5:6], s[10:11]
	v_cndmask_b32_e64 v13, v19, v13, s1
	v_cndmask_b32_e64 v2, 0, 1, vcc_lo
	v_or_b32_e32 v19, 0x1000, v15
	v_cmp_gt_i32_e32 vcc_lo, 31, v17
	v_and_b32_e32 v10, 0xffff, v10
	v_and_b32_e32 v0, 7, v13
	v_lshl_or_b32 v2, v2, 9, 0x7c00
	v_lshrrev_b32_e32 v13, 2, v13
	v_cndmask_b32_e32 v9, 0x7c00, v9, vcc_lo
	v_cmp_eq_u32_e32 vcc_lo, 0x40f, v17
	v_lshrrev_b32_e32 v17, v21, v19
	v_cmp_eq_u32_e64 s0, 3, v0
	s_delay_alu instid0(VALU_DEP_4) | instskip(NEXT) | instid1(VALU_DEP_3)
	v_cndmask_b32_e32 v2, v9, v2, vcc_lo
	v_lshlrev_b32_e32 v21, v21, v17
	v_lshrrev_b32_e32 v9, 16, v14
	s_delay_alu instid0(VALU_DEP_2)
	v_cmp_ne_u32_e32 vcc_lo, v21, v19
	scratch_load_b32 v21, off, off offset:52 ; 4-byte Folded Reload
	v_and_or_b32 v2, 0x8000, v9, v2
	v_mul_f64 v[7:8], v[7:8], s[10:11]
	v_cndmask_b32_e64 v14, 0, 1, vcc_lo
	v_cmp_lt_i32_e32 vcc_lo, 5, v0
	v_add_nc_u32_e32 v0, 0xfffffc10, v18
	v_lshl_or_b32 v18, v2, 16, v10
	s_delay_alu instid0(VALU_DEP_4) | instskip(SKIP_1) | instid1(VALU_DEP_3)
	v_or_b32_e32 v9, v17, v14
	s_or_b32 vcc_lo, s0, vcc_lo
	v_lshl_or_b32 v14, v0, 12, v15
	v_add_co_ci_u32_e32 v13, vcc_lo, 0, v13, vcc_lo
	v_cmp_gt_i32_e32 vcc_lo, 1, v0
	v_lshrrev_b32_e32 v17, 16, v1
	v_and_or_b32 v2, 0x1ff, v6, v5
	v_cndmask_b32_e32 v14, v14, v9, vcc_lo
	v_cmp_ne_u32_e32 vcc_lo, 0, v11
	v_cndmask_b32_e64 v11, 0, 1, vcc_lo
	v_cmp_gt_i32_e32 vcc_lo, 31, v20
	s_delay_alu instid0(VALU_DEP_2)
	v_lshl_or_b32 v10, v11, 9, 0x7c00
	v_cndmask_b32_e32 v5, 0x7c00, v13, vcc_lo
	v_cmp_ne_u32_e32 vcc_lo, 0, v2
	v_lshrrev_b32_e32 v11, 8, v6
	v_bfe_u32 v13, v6, 20, 11
	v_lshrrev_b32_e32 v6, 16, v6
	v_cndmask_b32_e64 v2, 0, 1, vcc_lo
	v_cmp_eq_u32_e32 vcc_lo, 0x40f, v20
	v_lshrrev_b32_e32 v20, 16, v12
	v_and_or_b32 v7, 0x1ff, v8, v7
	v_lshrrev_b32_e32 v12, 8, v8
	v_and_or_b32 v19, 0xffe, v11, v2
	v_and_b32_e32 v11, 7, v14
	v_cndmask_b32_e32 v5, v5, v10, vcc_lo
	v_sub_nc_u32_e32 v2, 0x3f1, v13
	s_delay_alu instid0(VALU_DEP_3) | instskip(SKIP_2) | instid1(VALU_DEP_4)
	v_cmp_lt_i32_e32 vcc_lo, 5, v11
	v_cmp_eq_u32_e64 s0, 3, v11
	v_lshrrev_b32_e32 v11, 2, v14
	v_med3_i32 v2, v2, 0, 13
	v_and_or_b32 v5, 0x8000, v20, v5
	s_delay_alu instid0(VALU_DEP_4) | instskip(NEXT) | instid1(VALU_DEP_3)
	s_or_b32 vcc_lo, s0, vcc_lo
	v_add_co_ci_u32_e32 v11, vcc_lo, 0, v11, vcc_lo
	v_cmp_ne_u32_e32 vcc_lo, 0, v15
	s_delay_alu instid0(VALU_DEP_3) | instskip(SKIP_4) | instid1(VALU_DEP_2)
	v_and_b32_e32 v5, 0xffff, v5
	v_cndmask_b32_e64 v15, 0, 1, vcc_lo
	v_cmp_ne_u32_e32 vcc_lo, 0, v7
	v_cndmask_b32_e64 v7, 0, 1, vcc_lo
	v_cmp_gt_i32_e32 vcc_lo, 31, v0
	v_and_or_b32 v7, 0xffe, v12, v7
	s_waitcnt vmcnt(0)
	v_mul_f16_e32 v9, v21, v17
	s_delay_alu instid0(VALU_DEP_1) | instskip(SKIP_2) | instid1(VALU_DEP_3)
	v_fmac_f16_e32 v9, v22, v1
	v_mul_f16_e32 v1, v21, v1
	v_or_b32_e32 v21, 0x1000, v19
	v_cvt_f32_f16_e32 v9, v9
	s_delay_alu instid0(VALU_DEP_3) | instskip(NEXT) | instid1(VALU_DEP_3)
	v_fma_f16 v1, v22, v17, -v1
	v_lshrrev_b32_e32 v14, v2, v21
	v_cndmask_b32_e32 v22, 0x7c00, v11, vcc_lo
	v_bfe_u32 v17, v8, 20, 11
	v_cvt_f64_f32_e32 v[9:10], v9
	v_cvt_f32_f16_e32 v1, v1
	v_lshlrev_b32_e32 v2, v2, v14
	s_delay_alu instid0(VALU_DEP_2) | instskip(NEXT) | instid1(VALU_DEP_2)
	v_cvt_f64_f32_e32 v[11:12], v1
	v_cmp_ne_u32_e32 vcc_lo, v2, v21
	v_add_nc_u32_e32 v21, 0xfffffc10, v13
	v_sub_nc_u32_e32 v2, 0x3f1, v17
	v_lshl_or_b32 v13, v15, 9, 0x7c00
	v_or_b32_e32 v15, 0x1000, v7
	v_cndmask_b32_e64 v1, 0, 1, vcc_lo
	v_lshl_or_b32 v23, v21, 12, v19
	v_cmp_gt_i32_e32 vcc_lo, 1, v21
	v_med3_i32 v24, v2, 0, 13
	s_delay_alu instid0(VALU_DEP_4)
	v_or_b32_e32 v14, v14, v1
	ds_load_2addr_b32 v[1:2], v162 offset0:80 offset1:170
	v_cndmask_b32_e32 v14, v23, v14, vcc_lo
	v_cmp_eq_u32_e32 vcc_lo, 0x40f, v0
	v_cndmask_b32_e32 v0, v22, v13, vcc_lo
	v_lshrrev_b32_e32 v13, 16, v16
	v_lshrrev_b32_e32 v16, v24, v15
	v_and_b32_e32 v22, 7, v14
	v_add_co_u32 v3, vcc_lo, v3, s12
	v_add_co_ci_u32_e32 v4, vcc_lo, s7, v4, vcc_lo
	s_delay_alu instid0(VALU_DEP_4)
	v_lshlrev_b32_e32 v23, v24, v16
	scratch_load_b32 v24, off, off offset:44 ; 4-byte Folded Reload
	v_mul_f64 v[9:10], v[9:10], s[10:11]
	v_cmp_lt_i32_e32 vcc_lo, 5, v22
	v_cmp_eq_u32_e64 s0, 3, v22
	v_cmp_ne_u32_e64 s1, v23, v15
	scratch_load_b32 v23, off, off offset:40 ; 4-byte Folded Reload
	v_and_or_b32 v0, 0x8000, v13, v0
	v_lshrrev_b32_e32 v13, 2, v14
	v_add_nc_u32_e32 v15, 0xfffffc10, v17
	v_cndmask_b32_e64 v14, 0, 1, s1
	s_or_b32 vcc_lo, s0, vcc_lo
	s_waitcnt lgkmcnt(0)
	v_lshrrev_b32_e32 v17, 16, v1
	v_add_co_ci_u32_e32 v13, vcc_lo, 0, v13, vcc_lo
	v_or_b32_e32 v14, v16, v14
	v_lshl_or_b32 v16, v15, 12, v7
	v_cmp_gt_i32_e32 vcc_lo, 1, v15
	v_mul_f64 v[11:12], v[11:12], s[10:11]
	v_lshl_or_b32 v22, v0, 16, v5
	s_delay_alu instid0(VALU_DEP_4) | instskip(SKIP_1) | instid1(VALU_DEP_2)
	v_cndmask_b32_e32 v16, v16, v14, vcc_lo
	v_cmp_ne_u32_e32 vcc_lo, 0, v19
	v_and_b32_e32 v0, 7, v16
	v_cndmask_b32_e64 v14, 0, 1, vcc_lo
	v_cmp_gt_i32_e32 vcc_lo, 31, v21
	s_delay_alu instid0(VALU_DEP_3)
	v_cmp_eq_u32_e64 s0, 3, v0
	v_cndmask_b32_e32 v19, 0x7c00, v13, vcc_lo
	v_cmp_eq_u32_e32 vcc_lo, 0x40f, v21
	v_and_or_b32 v9, 0x1ff, v10, v9
	v_lshrrev_b32_e32 v21, 8, v12
	s_waitcnt vmcnt(1)
	v_mul_f16_e32 v20, v24, v17
	s_waitcnt vmcnt(0)
	s_delay_alu instid0(VALU_DEP_1) | instskip(SKIP_2) | instid1(VALU_DEP_3)
	v_fmac_f16_e32 v20, v23, v1
	v_mul_f16_e32 v1, v24, v1
	v_lshrrev_b32_e32 v24, 16, v8
	v_cvt_f32_f16_e32 v13, v20
	v_lshl_or_b32 v20, v14, 9, 0x7c00
	s_delay_alu instid0(VALU_DEP_4) | instskip(SKIP_1) | instid1(VALU_DEP_4)
	v_fma_f16 v1, v23, v17, -v1
	v_bfe_u32 v23, v12, 20, 11
	v_cvt_f64_f32_e32 v[13:14], v13
	s_delay_alu instid0(VALU_DEP_4)
	v_cndmask_b32_e32 v5, v19, v20, vcc_lo
	v_cmp_ne_u32_e32 vcc_lo, 0, v9
	v_lshrrev_b32_e32 v19, 8, v10
	v_bfe_u32 v20, v10, 20, 11
	v_cvt_f32_f16_e32 v1, v1
	v_cndmask_b32_e64 v9, 0, 1, vcc_lo
	v_cmp_lt_i32_e32 vcc_lo, 5, v0
	s_delay_alu instid0(VALU_DEP_4) | instskip(SKIP_1) | instid1(VALU_DEP_4)
	v_sub_nc_u32_e32 v0, 0x3f1, v20
	v_add_nc_u32_e32 v20, 0xfffffc10, v20
	v_and_or_b32 v9, 0xffe, v19, v9
	v_and_or_b32 v19, 0x8000, v6, v5
	v_lshrrev_b32_e32 v5, 2, v16
	s_or_b32 vcc_lo, s0, vcc_lo
	v_med3_i32 v0, v0, 0, 13
	v_or_b32_e32 v16, 0x1000, v9
	v_and_b32_e32 v19, 0xffff, v19
	v_add_co_ci_u32_e32 v5, vcc_lo, 0, v5, vcc_lo
	v_cmp_ne_u32_e32 vcc_lo, 0, v7
	v_and_or_b32 v7, 0x1ff, v12, v11
	v_lshrrev_b32_e32 v17, v0, v16
	v_lshrrev_b32_e32 v12, 16, v12
	v_cndmask_b32_e64 v6, 0, 1, vcc_lo
	v_cmp_gt_i32_e32 vcc_lo, 31, v15
	s_delay_alu instid0(VALU_DEP_4) | instskip(NEXT) | instid1(VALU_DEP_3)
	v_lshlrev_b32_e32 v0, v0, v17
	v_lshl_or_b32 v6, v6, 9, 0x7c00
	v_cndmask_b32_e32 v5, 0x7c00, v5, vcc_lo
	v_cmp_eq_u32_e32 vcc_lo, 0x40f, v15
	s_delay_alu instid0(VALU_DEP_2)
	v_cndmask_b32_e32 v11, v5, v6, vcc_lo
	v_cmp_ne_u32_e32 vcc_lo, 0, v7
	v_mul_f64 v[7:8], v[13:14], s[10:11]
	v_sub_nc_u32_e32 v13, 0x3f1, v23
	v_cvt_f64_f32_e32 v[5:6], v1
	v_and_or_b32 v11, 0x8000, v24, v11
	v_cndmask_b32_e64 v15, 0, 1, vcc_lo
	v_cmp_ne_u32_e32 vcc_lo, v0, v16
	v_med3_i32 v25, v13, 0, 13
	ds_load_2addr_b32 v[0:1], v176 offset0:84 offset1:174
	v_lshl_or_b32 v11, v11, 16, v19
	v_and_or_b32 v15, 0xffe, v21, v15
	v_cndmask_b32_e64 v16, 0, 1, vcc_lo
	v_add_co_u32 v13, vcc_lo, v3, s8
	v_add_co_ci_u32_e32 v14, vcc_lo, s9, v4, vcc_lo
	s_delay_alu instid0(VALU_DEP_4)
	v_or_b32_e32 v21, 0x1000, v15
	global_store_b32 v[3:4], v18, off
	global_store_b32 v[13:14], v22, off
	v_add_nc_u32_e32 v19, 0xfffffc10, v23
	s_clause 0x1
	scratch_load_b32 v23, off, off offset:32
	scratch_load_b32 v26, off, off offset:28
	v_lshrrev_b32_e32 v24, v25, v21
	v_or_b32_e32 v16, v17, v16
	v_lshl_or_b32 v17, v20, 12, v9
	v_cmp_gt_i32_e32 vcc_lo, 1, v20
	v_cmp_gt_i32_e64 s1, 1, v19
	v_lshlrev_b32_e32 v3, v25, v24
	s_clause 0x1
	scratch_load_b32 v25, off, off offset:36
	scratch_load_b32 v28, off, off offset:12
	v_cndmask_b32_e32 v16, v17, v16, vcc_lo
	s_waitcnt lgkmcnt(0)
	v_lshrrev_b32_e32 v17, 16, v0
	v_cmp_ne_u32_e64 s0, v3, v21
	v_add_co_u32 v13, vcc_lo, v13, s12
	v_and_b32_e32 v4, 7, v16
	v_add_co_ci_u32_e32 v14, vcc_lo, s7, v14, vcc_lo
	s_delay_alu instid0(VALU_DEP_4) | instskip(SKIP_1) | instid1(VALU_DEP_4)
	v_cndmask_b32_e64 v3, 0, 1, s0
	v_and_or_b32 v7, 0x1ff, v8, v7
	v_cmp_lt_i32_e32 vcc_lo, 5, v4
	v_cmp_eq_u32_e64 s0, 3, v4
	v_mul_f64 v[4:5], v[5:6], s[10:11]
	v_or_b32_e32 v3, v24, v3
	v_lshl_or_b32 v6, v19, 12, v15
	v_lshrrev_b32_e32 v16, 2, v16
	v_lshrrev_b32_e32 v22, 8, v8
	s_or_b32 vcc_lo, s0, vcc_lo
	global_store_b32 v[13:14], v11, off
	v_cndmask_b32_e64 v3, v6, v3, s1
	v_cmp_ne_u32_e64 s1, 0, v7
	v_add_co_ci_u32_e32 v16, vcc_lo, 0, v16, vcc_lo
	v_cmp_ne_u32_e32 vcc_lo, 0, v9
	s_delay_alu instid0(VALU_DEP_3) | instskip(SKIP_2) | instid1(VALU_DEP_3)
	v_cndmask_b32_e64 v21, 0, 1, s1
	v_cmp_gt_i32_e64 s1, 31, v20
	v_cndmask_b32_e64 v9, 0, 1, vcc_lo
	v_and_or_b32 v21, 0xffe, v22, v21
	v_and_b32_e32 v22, 7, v3
	v_lshrrev_b32_e32 v3, 2, v3
	v_cndmask_b32_e64 v16, 0x7c00, v16, s1
	v_lshl_or_b32 v9, v9, 9, 0x7c00
	s_delay_alu instid0(VALU_DEP_4) | instskip(SKIP_2) | instid1(VALU_DEP_2)
	v_cmp_lt_i32_e32 vcc_lo, 5, v22
	v_cmp_eq_u32_e64 s0, 3, v22
	v_or_b32_e32 v22, 0x1000, v21
	s_or_b32 vcc_lo, s0, vcc_lo
	v_add_co_ci_u32_e32 v3, vcc_lo, 0, v3, vcc_lo
	v_cmp_eq_u32_e32 vcc_lo, 0x40f, v20
	v_lshrrev_b32_e32 v20, 16, v10
	v_and_or_b32 v4, 0x1ff, v5, v4
	v_cndmask_b32_e32 v16, v16, v9, vcc_lo
	v_cmp_gt_i32_e32 vcc_lo, 31, v19
	s_delay_alu instid0(VALU_DEP_2) | instskip(NEXT) | instid1(VALU_DEP_1)
	v_and_or_b32 v16, 0x8000, v20, v16
	v_and_b32_e32 v16, 0xffff, v16
	s_waitcnt vmcnt(1)
	v_mul_f16_e32 v18, v25, v17
	s_delay_alu instid0(VALU_DEP_1) | instskip(SKIP_1) | instid1(VALU_DEP_2)
	v_fmac_f16_e32 v18, v23, v0
	v_mul_f16_e32 v0, v25, v0
	v_cvt_f32_f16_e32 v18, v18
	s_delay_alu instid0(VALU_DEP_2) | instskip(NEXT) | instid1(VALU_DEP_2)
	v_fma_f16 v0, v23, v17, -v0
	v_cvt_f64_f32_e32 v[6:7], v18
	v_bfe_u32 v18, v8, 20, 11
	s_delay_alu instid0(VALU_DEP_3) | instskip(NEXT) | instid1(VALU_DEP_2)
	v_cvt_f32_f16_e32 v0, v0
	v_sub_nc_u32_e32 v17, 0x3f1, v18
	s_delay_alu instid0(VALU_DEP_2) | instskip(SKIP_2) | instid1(VALU_DEP_4)
	v_cvt_f64_f32_e32 v[9:10], v0
	v_cndmask_b32_e32 v0, 0x7c00, v3, vcc_lo
	v_add_nc_u32_e32 v18, 0xfffffc10, v18
	v_med3_i32 v17, v17, 0, 13
	s_delay_alu instid0(VALU_DEP_1) | instskip(NEXT) | instid1(VALU_DEP_1)
	v_lshrrev_b32_e32 v23, v17, v22
	v_lshlrev_b32_e32 v17, v17, v23
	s_delay_alu instid0(VALU_DEP_1)
	v_cmp_ne_u32_e32 vcc_lo, v17, v22
	v_lshrrev_b32_e32 v17, 8, v5
	v_bfe_u32 v22, v5, 20, 11
	v_lshrrev_b32_e32 v5, 16, v5
	v_cndmask_b32_e64 v3, 0, 1, vcc_lo
	v_cmp_ne_u32_e32 vcc_lo, 0, v4
	s_delay_alu instid0(VALU_DEP_2) | instskip(SKIP_4) | instid1(VALU_DEP_4)
	v_or_b32_e32 v3, v23, v3
	v_cndmask_b32_e64 v4, 0, 1, vcc_lo
	v_cmp_ne_u32_e32 vcc_lo, 0, v15
	v_lshl_or_b32 v23, v18, 12, v21
	v_mul_f64 v[6:7], v[6:7], s[10:11]
	v_and_or_b32 v17, 0xffe, v17, v4
	v_cndmask_b32_e64 v15, 0, 1, vcc_lo
	v_sub_nc_u32_e32 v4, 0x3f1, v22
	v_cmp_gt_i32_e32 vcc_lo, 1, v18
	v_mul_f64 v[9:10], v[9:10], s[10:11]
	v_or_b32_e32 v24, 0x1000, v17
	v_lshl_or_b32 v15, v15, 9, 0x7c00
	v_med3_i32 v25, v4, 0, 13
	v_cndmask_b32_e32 v23, v23, v3, vcc_lo
	v_cmp_eq_u32_e32 vcc_lo, 0x40f, v19
	ds_load_2addr_b32 v[3:4], v167 offset0:88 offset1:178
	v_and_b32_e32 v19, 7, v23
	v_cndmask_b32_e32 v0, v0, v15, vcc_lo
	v_lshrrev_b32_e32 v15, v25, v24
	v_lshrrev_b32_e32 v11, 2, v23
	s_delay_alu instid0(VALU_DEP_4) | instskip(SKIP_1) | instid1(VALU_DEP_4)
	v_cmp_lt_i32_e32 vcc_lo, 5, v19
	v_cmp_eq_u32_e64 s0, 3, v19
	v_lshlrev_b32_e32 v20, v25, v15
	scratch_load_b32 v25, off, off offset:24 ; 4-byte Folded Reload
	v_and_or_b32 v0, 0x8000, v12, v0
	v_add_nc_u32_e32 v19, 0xfffffc10, v22
	s_or_b32 vcc_lo, s0, vcc_lo
	v_cmp_ne_u32_e64 s1, v20, v24
	v_add_co_ci_u32_e32 v11, vcc_lo, 0, v11, vcc_lo
	v_cmp_ne_u32_e32 vcc_lo, 0, v21
	v_lshl_or_b32 v0, v0, 16, v16
	s_delay_alu instid0(VALU_DEP_4)
	v_cndmask_b32_e64 v12, 0, 1, s1
	s_waitcnt lgkmcnt(0)
	v_lshrrev_b32_e32 v20, 16, v3
	v_cmp_eq_u32_e64 s1, 0x40f, v18
	v_cndmask_b32_e64 v21, 0, 1, vcc_lo
	v_cmp_gt_i32_e32 vcc_lo, 1, v19
	v_or_b32_e32 v12, v15, v12
	v_lshl_or_b32 v15, v19, 12, v17
	v_and_or_b32 v6, 0x1ff, v7, v6
	v_lshrrev_b32_e32 v23, 8, v7
	v_bfe_u32 v24, v7, 20, 11
	v_lshl_or_b32 v21, v21, 9, 0x7c00
	v_cndmask_b32_e32 v15, v15, v12, vcc_lo
	v_cmp_gt_i32_e32 vcc_lo, 31, v18
	v_mul_f16_e32 v12, v26, v20
	v_and_or_b32 v9, 0x1ff, v10, v9
	v_bfe_u32 v27, v10, 20, 11
	v_cndmask_b32_e32 v22, 0x7c00, v11, vcc_lo
	v_and_b32_e32 v11, 7, v15
	v_cmp_ne_u32_e32 vcc_lo, 0, v6
	v_lshrrev_b32_e32 v15, 2, v15
	s_delay_alu instid0(VALU_DEP_4) | instskip(NEXT) | instid1(VALU_DEP_4)
	v_cndmask_b32_e64 v18, v22, v21, s1
	v_cmp_eq_u32_e64 s0, 3, v11
	v_cndmask_b32_e64 v6, 0, 1, vcc_lo
	v_cmp_lt_i32_e32 vcc_lo, 5, v11
	s_delay_alu instid0(VALU_DEP_2) | instskip(NEXT) | instid1(VALU_DEP_4)
	v_and_or_b32 v6, 0xffe, v23, v6
	s_or_b32 vcc_lo, s0, vcc_lo
	v_sub_nc_u32_e32 v23, 0x3f1, v24
	v_add_co_ci_u32_e32 v15, vcc_lo, 0, v15, vcc_lo
	v_cmp_ne_u32_e32 vcc_lo, 0, v17
	v_or_b32_e32 v21, 0x1000, v6
	s_delay_alu instid0(VALU_DEP_4) | instskip(SKIP_2) | instid1(VALU_DEP_3)
	v_med3_i32 v22, v23, 0, 13
	v_cndmask_b32_e64 v17, 0, 1, vcc_lo
	v_cmp_gt_i32_e32 vcc_lo, 31, v19
	v_lshrrev_b32_e32 v23, v22, v21
	s_delay_alu instid0(VALU_DEP_3) | instskip(SKIP_2) | instid1(VALU_DEP_4)
	v_lshl_or_b32 v17, v17, 9, 0x7c00
	v_cndmask_b32_e32 v15, 0x7c00, v15, vcc_lo
	v_cmp_ne_u32_e32 vcc_lo, 0, v9
	v_lshlrev_b32_e32 v22, v22, v23
	s_waitcnt vmcnt(0)
	v_fmac_f16_e32 v12, v25, v3
	v_mul_f16_e32 v3, v26, v3
	v_lshrrev_b32_e32 v26, 8, v10
	v_lshrrev_b32_e32 v10, 16, v10
	s_delay_alu instid0(VALU_DEP_4) | instskip(NEXT) | instid1(VALU_DEP_4)
	v_cvt_f32_f16_e32 v12, v12
	v_fma_f16 v3, v25, v20, -v3
	v_cndmask_b32_e64 v25, 0, 1, vcc_lo
	v_cmp_ne_u32_e32 vcc_lo, v22, v21
	v_lshrrev_b32_e32 v20, 16, v8
	v_cvt_f64_f32_e32 v[11:12], v12
	v_cvt_f32_f16_e32 v3, v3
	v_and_or_b32 v22, 0xffe, v26, v25
	s_clause 0x1
	scratch_load_b32 v25, off, off offset:20
	scratch_load_b32 v26, off, off offset:16
	v_add_nc_u32_e32 v21, 0xfffffc10, v24
	v_cvt_f64_f32_e32 v[8:9], v3
	v_cndmask_b32_e64 v3, 0, 1, vcc_lo
	v_cmp_eq_u32_e32 vcc_lo, 0x40f, v19
	v_sub_nc_u32_e32 v24, 0x3f1, v27
	v_or_b32_e32 v19, 0x1000, v22
	v_and_or_b32 v18, 0x8000, v20, v18
	v_or_b32_e32 v3, v23, v3
	v_cndmask_b32_e32 v15, v15, v17, vcc_lo
	v_lshl_or_b32 v17, v21, 12, v6
	v_cmp_gt_i32_e32 vcc_lo, 1, v21
	v_med3_i32 v23, v24, 0, 13
	v_lshrrev_b32_e32 v20, 16, v2
	v_and_or_b32 v5, 0x8000, v5, v15
	v_and_b32_e32 v15, 0xffff, v18
	v_cndmask_b32_e32 v3, v17, v3, vcc_lo
	v_lshrrev_b32_e32 v17, v23, v19
	v_add_co_u32 v13, vcc_lo, v13, s12
	v_add_co_ci_u32_e32 v14, vcc_lo, s7, v14, vcc_lo
	s_delay_alu instid0(VALU_DEP_4) | instskip(NEXT) | instid1(VALU_DEP_4)
	v_and_b32_e32 v16, 7, v3
	v_lshlrev_b32_e32 v18, v23, v17
	v_lshrrev_b32_e32 v3, 2, v3
	v_lshl_or_b32 v23, v5, 16, v15
	s_delay_alu instid0(VALU_DEP_4) | instskip(SKIP_3) | instid1(VALU_DEP_3)
	v_cmp_lt_i32_e32 vcc_lo, 5, v16
	v_cmp_eq_u32_e64 s0, 3, v16
	v_cmp_ne_u32_e64 s1, v18, v19
	v_add_nc_u32_e32 v19, 0xfffffc10, v27
	s_or_b32 vcc_lo, s0, vcc_lo
	v_mul_f64 v[11:12], v[11:12], s[10:11]
	v_add_co_ci_u32_e32 v3, vcc_lo, 0, v3, vcc_lo
	v_cndmask_b32_e64 v18, 0, 1, s1
	v_cmp_ne_u32_e32 vcc_lo, 0, v6
	v_mul_f64 v[8:9], v[8:9], s[10:11]
	s_delay_alu instid0(VALU_DEP_3) | instskip(SKIP_3) | instid1(VALU_DEP_3)
	v_or_b32_e32 v17, v17, v18
	v_lshl_or_b32 v18, v19, 12, v22
	v_cndmask_b32_e64 v6, 0, 1, vcc_lo
	v_cmp_gt_i32_e32 vcc_lo, 1, v19
	v_cndmask_b32_e32 v17, v18, v17, vcc_lo
	v_cmp_gt_i32_e32 vcc_lo, 31, v21
	s_delay_alu instid0(VALU_DEP_4) | instskip(NEXT) | instid1(VALU_DEP_3)
	v_lshl_or_b32 v18, v6, 9, 0x7c00
	v_dual_cndmask_b32 v3, 0x7c00, v3 :: v_dual_and_b32 v24, 7, v17
	v_add_co_u32 v5, vcc_lo, v13, s8
	v_add_co_ci_u32_e32 v6, vcc_lo, s9, v14, vcc_lo
	v_cmp_eq_u32_e32 vcc_lo, 0x40f, v21
	s_delay_alu instid0(VALU_DEP_4) | instskip(SKIP_3) | instid1(VALU_DEP_2)
	v_cndmask_b32_e32 v18, v3, v18, vcc_lo
	v_cmp_lt_i32_e32 vcc_lo, 5, v24
	v_and_or_b32 v11, 0x1ff, v12, v11
	v_bfe_u32 v21, v12, 20, 11
	v_cmp_ne_u32_e64 s0, 0, v11
	v_lshrrev_b32_e32 v11, 8, v12
	v_and_or_b32 v8, 0x1ff, v9, v8
	v_lshrrev_b32_e32 v12, 16, v12
	s_delay_alu instid0(VALU_DEP_4) | instskip(SKIP_3) | instid1(VALU_DEP_4)
	v_cndmask_b32_e64 v3, 0, 1, s0
	v_cmp_eq_u32_e64 s0, 3, v24
	v_lshrrev_b32_e32 v24, 16, v7
	v_lshrrev_b32_e32 v7, 2, v17
	v_and_or_b32 v17, 0xffe, v11, v3
	s_delay_alu instid0(VALU_DEP_4) | instskip(SKIP_1) | instid1(VALU_DEP_3)
	s_or_b32 vcc_lo, s0, vcc_lo
	v_sub_nc_u32_e32 v3, 0x3f1, v21
	v_add_co_ci_u32_e32 v7, vcc_lo, 0, v7, vcc_lo
	v_cmp_ne_u32_e32 vcc_lo, 0, v22
	v_or_b32_e32 v11, 0x1000, v17
	s_delay_alu instid0(VALU_DEP_4) | instskip(SKIP_4) | instid1(VALU_DEP_3)
	v_med3_i32 v3, v3, 0, 13
	v_add_nc_u32_e32 v21, 0xfffffc10, v21
	v_and_or_b32 v18, 0x8000, v24, v18
	v_cndmask_b32_e64 v22, 0, 1, vcc_lo
	v_cmp_gt_i32_e32 vcc_lo, 31, v19
	v_and_b32_e32 v18, 0xffff, v18
	s_delay_alu instid0(VALU_DEP_3) | instskip(SKIP_3) | instid1(VALU_DEP_1)
	v_lshl_or_b32 v22, v22, 9, 0x7c00
	s_waitcnt vmcnt(1)
	v_mul_f16_e32 v16, v25, v20
	s_waitcnt vmcnt(0)
	v_fmac_f16_e32 v16, v26, v2
	v_mul_f16_e32 v2, v25, v2
	v_lshrrev_b32_e32 v25, v3, v11
	s_delay_alu instid0(VALU_DEP_3) | instskip(NEXT) | instid1(VALU_DEP_3)
	v_cvt_f32_f16_e32 v16, v16
	v_fma_f16 v20, v26, v20, -v2
	v_cndmask_b32_e32 v26, 0x7c00, v7, vcc_lo
	v_cmp_ne_u32_e32 vcc_lo, 0, v8
	v_lshlrev_b32_e32 v27, v3, v25
	v_cvt_f64_f32_e32 v[15:16], v16
	v_cvt_f32_f16_e32 v7, v20
	v_bfe_u32 v20, v9, 20, 11
	s_delay_alu instid0(VALU_DEP_2) | instskip(NEXT) | instid1(VALU_DEP_4)
	v_cvt_f64_f32_e32 v[7:8], v7
	v_mul_f64 v[2:3], v[15:16], s[10:11]
	v_cndmask_b32_e64 v15, 0, 1, vcc_lo
	v_cmp_eq_u32_e32 vcc_lo, 0x40f, v19
	v_lshrrev_b32_e32 v16, 8, v9
	v_lshrrev_b32_e32 v9, 16, v9
	v_mul_f64 v[7:8], v[7:8], s[10:11]
	v_cndmask_b32_e32 v19, v26, v22, vcc_lo
	v_cmp_ne_u32_e32 vcc_lo, v27, v11
	v_and_or_b32 v15, 0xffe, v16, v15
	v_sub_nc_u32_e32 v16, 0x3f1, v20
	v_lshrrev_b32_e32 v26, 16, v1
	v_and_or_b32 v10, 0x8000, v10, v19
	v_cndmask_b32_e64 v11, 0, 1, vcc_lo
	v_cmp_gt_i32_e32 vcc_lo, 1, v21
	v_or_b32_e32 v22, 0x1000, v15
	v_med3_i32 v16, v16, 0, 13
	s_delay_alu instid0(VALU_DEP_4) | instskip(SKIP_1) | instid1(VALU_DEP_3)
	v_or_b32_e32 v11, v25, v11
	v_lshl_or_b32 v25, v21, 12, v17
	v_lshrrev_b32_e32 v27, v16, v22
	s_delay_alu instid0(VALU_DEP_2)
	v_cndmask_b32_e32 v24, v25, v11, vcc_lo
	scratch_load_b32 v25, off, off offset:8 ; 4-byte Folded Reload
	v_mul_f16_e32 v11, v28, v26
	global_store_b32 v[13:14], v0, off
	global_store_b32 v[5:6], v23, off
	v_lshlrev_b32_e32 v16, v16, v27
	v_and_b32_e32 v19, 7, v24
	v_lshl_or_b32 v0, v10, 16, v18
	v_add_nc_u32_e32 v14, 0xfffffc10, v20
	s_delay_alu instid0(VALU_DEP_4)
	v_cmp_ne_u32_e64 s0, v16, v22
	v_lshrrev_b32_e32 v16, 2, v24
	scratch_load_b32 v24, off, off          ; 4-byte Folded Reload
	v_cmp_lt_i32_e32 vcc_lo, 5, v19
	v_lshl_or_b32 v18, v14, 12, v15
	v_cndmask_b32_e64 v13, 0, 1, s0
	v_cmp_eq_u32_e64 s0, 3, v19
	v_and_or_b32 v2, 0x1ff, v3, v2
	v_lshrrev_b32_e32 v19, 8, v3
	v_bfe_u32 v20, v3, 20, 11
	v_or_b32_e32 v13, v27, v13
	s_or_b32 vcc_lo, s0, vcc_lo
	v_cmp_ne_u32_e64 s1, 0, v2
	v_add_co_ci_u32_e32 v16, vcc_lo, 0, v16, vcc_lo
	v_cmp_gt_i32_e32 vcc_lo, 1, v14
	v_and_or_b32 v7, 0x1ff, v8, v7
	s_delay_alu instid0(VALU_DEP_4)
	v_cndmask_b32_e64 v2, 0, 1, s1
	v_cmp_eq_u32_e64 s1, 0x40f, v21
	v_lshrrev_b32_e32 v3, 16, v3
	v_cndmask_b32_e32 v13, v18, v13, vcc_lo
	v_cmp_ne_u32_e32 vcc_lo, 0, v17
	v_and_or_b32 v18, 0xffe, v19, v2
	v_sub_nc_u32_e32 v2, 0x3f1, v20
	s_delay_alu instid0(VALU_DEP_4)
	v_and_b32_e32 v19, 7, v13
	v_cndmask_b32_e64 v17, 0, 1, vcc_lo
	v_cmp_gt_i32_e32 vcc_lo, 31, v21
	v_or_b32_e32 v22, 0x1000, v18
	v_med3_i32 v2, v2, 0, 13
	v_cmp_eq_u32_e64 s0, 3, v19
	v_lshrrev_b32_e32 v13, 2, v13
	v_cndmask_b32_e32 v16, 0x7c00, v16, vcc_lo
	v_cmp_lt_i32_e32 vcc_lo, 5, v19
	v_lshrrev_b32_e32 v23, v2, v22
	v_lshl_or_b32 v17, v17, 9, 0x7c00
	v_lshrrev_b32_e32 v21, 16, v4
	s_or_b32 vcc_lo, s0, vcc_lo
	s_delay_alu instid0(VALU_DEP_3)
	v_lshlrev_b32_e32 v2, v2, v23
	v_add_co_ci_u32_e32 v13, vcc_lo, 0, v13, vcc_lo
	v_cmp_ne_u32_e32 vcc_lo, 0, v15
	v_cndmask_b32_e64 v16, v16, v17, s1
	v_add_nc_u32_e32 v17, 0xfffffc10, v20
	v_bfe_u32 v20, v8, 20, 11
	v_cndmask_b32_e64 v15, 0, 1, vcc_lo
	v_cmp_ne_u32_e32 vcc_lo, v2, v22
	s_delay_alu instid0(VALU_DEP_4) | instskip(SKIP_1) | instid1(VALU_DEP_4)
	v_lshl_or_b32 v19, v17, 12, v18
	v_and_or_b32 v16, 0x8000, v12, v16
	v_lshl_or_b32 v15, v15, 9, 0x7c00
	v_cndmask_b32_e64 v2, 0, 1, vcc_lo
	v_cmp_gt_i32_e32 vcc_lo, 31, v14
	s_delay_alu instid0(VALU_DEP_4) | instskip(NEXT) | instid1(VALU_DEP_3)
	v_and_b32_e32 v16, 0xffff, v16
	v_or_b32_e32 v2, v23, v2
	v_cndmask_b32_e32 v13, 0x7c00, v13, vcc_lo
	v_cmp_gt_i32_e32 vcc_lo, 1, v17
	s_delay_alu instid0(VALU_DEP_3)
	v_cndmask_b32_e32 v12, v19, v2, vcc_lo
	v_cmp_ne_u32_e32 vcc_lo, 0, v7
	v_lshrrev_b32_e32 v19, 8, v8
	v_lshrrev_b32_e32 v8, 16, v8
	v_cndmask_b32_e64 v7, 0, 1, vcc_lo
	v_cmp_eq_u32_e32 vcc_lo, 0x40f, v14
	v_dual_cndmask_b32 v13, v13, v15 :: v_dual_and_b32 v14, 7, v12
	s_delay_alu instid0(VALU_DEP_3) | instskip(SKIP_1) | instid1(VALU_DEP_3)
	v_and_or_b32 v15, 0xffe, v19, v7
	v_sub_nc_u32_e32 v7, 0x3f1, v20
	v_cmp_lt_i32_e32 vcc_lo, 5, v14
	v_cmp_eq_u32_e64 s0, 3, v14
	v_and_or_b32 v14, 0x8000, v9, v13
	v_lshrrev_b32_e32 v9, 2, v12
	v_or_b32_e32 v22, 0x1000, v15
	v_med3_i32 v7, v7, 0, 13
	s_or_b32 vcc_lo, s0, vcc_lo
	v_add_nc_u32_e32 v20, 0xfffffc10, v20
	v_add_co_ci_u32_e32 v23, vcc_lo, 0, v9, vcc_lo
	s_delay_alu instid0(VALU_DEP_3) | instskip(SKIP_2) | instid1(VALU_DEP_3)
	v_lshrrev_b32_e32 v12, v7, v22
	v_cmp_ne_u32_e32 vcc_lo, 0, v18
	v_lshl_or_b32 v14, v14, 16, v16
	v_lshlrev_b32_e32 v7, v7, v12
	v_cndmask_b32_e64 v18, 0, 1, vcc_lo
	s_delay_alu instid0(VALU_DEP_1) | instskip(SKIP_3) | instid1(VALU_DEP_2)
	v_lshl_or_b32 v18, v18, 9, 0x7c00
	s_waitcnt vmcnt(1)
	v_fmac_f16_e32 v11, v25, v1
	v_mul_f16_e32 v1, v28, v1
	v_cvt_f32_f16_e32 v10, v11
	s_delay_alu instid0(VALU_DEP_2) | instskip(SKIP_3) | instid1(VALU_DEP_1)
	v_fma_f16 v1, v25, v26, -v1
	scratch_load_b32 v25, off, off offset:4 ; 4-byte Folded Reload
	v_cvt_f64_f32_e32 v[10:11], v10
	v_cvt_f32_f16_e32 v1, v1
	v_cvt_f64_f32_e32 v[1:2], v1
	s_delay_alu instid0(VALU_DEP_3) | instskip(NEXT) | instid1(VALU_DEP_2)
	v_mul_f64 v[10:11], v[10:11], s[10:11]
	v_mul_f64 v[1:2], v[1:2], s[10:11]
	s_delay_alu instid0(VALU_DEP_1) | instskip(SKIP_2) | instid1(VALU_DEP_1)
	v_and_or_b32 v1, 0x1ff, v2, v1
	s_waitcnt vmcnt(0)
	v_mul_f16_e32 v19, v25, v21
	v_fmac_f16_e32 v19, v24, v4
	v_mul_f16_e32 v4, v25, v4
	s_delay_alu instid0(VALU_DEP_2) | instskip(SKIP_1) | instid1(VALU_DEP_3)
	v_cvt_f32_f16_e32 v13, v19
	v_and_or_b32 v19, 0x1ff, v11, v10
	v_fma_f16 v4, v24, v21, -v4
	v_bfe_u32 v21, v11, 20, 11
	v_lshl_or_b32 v24, v20, 12, v15
	v_cvt_f64_f32_e32 v[9:10], v13
	v_cmp_ne_u32_e32 vcc_lo, 0, v19
	v_lshrrev_b32_e32 v19, 8, v11
	v_cvt_f32_f16_e32 v4, v4
	v_lshrrev_b32_e32 v11, 16, v11
	v_cndmask_b32_e64 v13, 0, 1, vcc_lo
	v_cmp_ne_u32_e32 vcc_lo, v7, v22
	v_sub_nc_u32_e32 v22, 0x3f1, v21
	s_delay_alu instid0(VALU_DEP_3) | instskip(SKIP_2) | instid1(VALU_DEP_4)
	v_and_or_b32 v19, 0xffe, v19, v13
	v_cndmask_b32_e64 v7, 0, 1, vcc_lo
	v_cmp_gt_i32_e32 vcc_lo, 31, v17
	v_med3_i32 v22, v22, 0, 13
	s_delay_alu instid0(VALU_DEP_4) | instskip(NEXT) | instid1(VALU_DEP_4)
	v_or_b32_e32 v25, 0x1000, v19
	v_or_b32_e32 v7, v12, v7
	v_cvt_f64_f32_e32 v[12:13], v4
	v_cndmask_b32_e32 v23, 0x7c00, v23, vcc_lo
	v_cmp_gt_i32_e32 vcc_lo, 1, v20
	v_lshrrev_b32_e32 v26, v22, v25
	v_cndmask_b32_e32 v24, v24, v7, vcc_lo
	v_add_co_u32 v4, vcc_lo, v5, s12
	v_add_co_ci_u32_e32 v5, vcc_lo, s7, v6, vcc_lo
	s_delay_alu instid0(VALU_DEP_3) | instskip(SKIP_3) | instid1(VALU_DEP_4)
	v_and_b32_e32 v6, 7, v24
	v_cmp_eq_u32_e32 vcc_lo, 0x40f, v17
	v_lshlrev_b32_e32 v22, v22, v26
	v_add_nc_u32_e32 v17, 0xfffffc10, v21
	v_cmp_eq_u32_e64 s0, 3, v6
	v_cndmask_b32_e32 v16, v23, v18, vcc_lo
	v_cmp_lt_i32_e32 vcc_lo, 5, v6
	v_mul_f64 v[6:7], v[9:10], s[10:11]
	v_lshrrev_b32_e32 v9, 2, v24
	v_cmp_ne_u32_e64 s1, v22, v25
	v_lshl_or_b32 v21, v17, 12, v19
	s_or_b32 vcc_lo, s0, vcc_lo
	v_bfe_u32 v23, v2, 20, 11
	v_add_co_ci_u32_e32 v9, vcc_lo, 0, v9, vcc_lo
	v_cmp_ne_u32_e32 vcc_lo, 0, v15
	v_cndmask_b32_e64 v10, 0, 1, s1
	v_and_or_b32 v3, 0x8000, v3, v16
	v_cndmask_b32_e64 v15, 0, 1, vcc_lo
	v_cmp_gt_i32_e32 vcc_lo, 31, v20
	s_delay_alu instid0(VALU_DEP_4) | instskip(NEXT) | instid1(VALU_DEP_4)
	v_or_b32_e32 v18, v26, v10
	v_and_b32_e32 v3, 0xffff, v3
	s_delay_alu instid0(VALU_DEP_4)
	v_lshl_or_b32 v15, v15, 9, 0x7c00
	v_cndmask_b32_e32 v22, 0x7c00, v9, vcc_lo
	v_mul_f64 v[9:10], v[12:13], s[10:11]
	v_add_co_u32 v12, vcc_lo, v4, s12
	v_add_co_ci_u32_e32 v13, vcc_lo, s7, v5, vcc_lo
	v_cmp_gt_i32_e32 vcc_lo, 1, v17
	v_cndmask_b32_e32 v18, v21, v18, vcc_lo
	v_cmp_ne_u32_e32 vcc_lo, 0, v1
	v_lshrrev_b32_e32 v21, 8, v2
	v_lshrrev_b32_e32 v2, 16, v2
	v_cndmask_b32_e64 v1, 0, 1, vcc_lo
	v_cmp_eq_u32_e32 vcc_lo, 0x40f, v20
	v_and_b32_e32 v20, 7, v18
	v_lshrrev_b32_e32 v18, 2, v18
	v_and_or_b32 v6, 0x1ff, v7, v6
	v_and_or_b32 v1, 0xffe, v21, v1
	v_cndmask_b32_e32 v15, v22, v15, vcc_lo
	v_sub_nc_u32_e32 v21, 0x3f1, v23
	v_cmp_lt_i32_e32 vcc_lo, 5, v20
	v_cmp_eq_u32_e64 s0, 3, v20
	v_bfe_u32 v22, v7, 20, 11
	v_and_or_b32 v8, 0x8000, v8, v15
	v_or_b32_e32 v15, 0x1000, v1
	v_med3_i32 v16, v21, 0, 13
	s_or_b32 vcc_lo, s0, vcc_lo
	v_lshrrev_b32_e32 v21, 8, v7
	v_add_co_ci_u32_e32 v18, vcc_lo, 0, v18, vcc_lo
	s_delay_alu instid0(VALU_DEP_3)
	v_lshrrev_b32_e32 v20, v16, v15
	v_cmp_ne_u32_e32 vcc_lo, 0, v6
	v_lshrrev_b32_e32 v7, 16, v7
	v_lshl_or_b32 v3, v8, 16, v3
	v_and_or_b32 v9, 0x1ff, v10, v9
	v_lshlrev_b32_e32 v16, v16, v20
	v_cndmask_b32_e64 v6, 0, 1, vcc_lo
	v_cmp_ne_u32_e32 vcc_lo, 0, v19
	v_lshrrev_b32_e32 v24, 8, v10
	v_bfe_u32 v25, v10, 20, 11
	s_delay_alu instid0(VALU_DEP_4)
	v_and_or_b32 v6, 0xffe, v21, v6
	v_cndmask_b32_e64 v19, 0, 1, vcc_lo
	v_cmp_ne_u32_e32 vcc_lo, v16, v15
	v_sub_nc_u32_e32 v21, 0x3f1, v22
	v_add_nc_u32_e32 v16, 0xfffffc10, v23
	v_or_b32_e32 v23, 0x1000, v6
	v_lshl_or_b32 v19, v19, 9, 0x7c00
	v_cndmask_b32_e64 v15, 0, 1, vcc_lo
	v_cmp_gt_i32_e32 vcc_lo, 31, v17
	v_med3_i32 v21, v21, 0, 13
	s_delay_alu instid0(VALU_DEP_3)
	v_or_b32_e32 v15, v20, v15
	v_cndmask_b32_e32 v18, 0x7c00, v18, vcc_lo
	v_cmp_ne_u32_e32 vcc_lo, 0, v9
	v_lshl_or_b32 v20, v16, 12, v1
	v_lshrrev_b32_e32 v26, v21, v23
	v_cndmask_b32_e64 v9, 0, 1, vcc_lo
	v_cmp_gt_i32_e32 vcc_lo, 1, v16
	s_delay_alu instid0(VALU_DEP_2) | instskip(SKIP_3) | instid1(VALU_DEP_4)
	v_and_or_b32 v9, 0xffe, v24, v9
	v_sub_nc_u32_e32 v24, 0x3f1, v25
	v_dual_cndmask_b32 v15, v20, v15 :: v_dual_lshlrev_b32 v20, v21, v26
	v_cmp_eq_u32_e32 vcc_lo, 0x40f, v17
	v_or_b32_e32 v21, 0x1000, v9
	s_delay_alu instid0(VALU_DEP_4) | instskip(NEXT) | instid1(VALU_DEP_4)
	v_med3_i32 v24, v24, 0, 13
	v_and_b32_e32 v27, 7, v15
	v_lshrrev_b32_e32 v15, 2, v15
	v_cndmask_b32_e32 v17, v18, v19, vcc_lo
	v_cmp_ne_u32_e32 vcc_lo, v20, v23
	v_add_nc_u32_e32 v19, 0xfffffc10, v22
	v_lshrrev_b32_e32 v20, v24, v21
	v_cmp_eq_u32_e64 s0, 3, v27
	v_and_or_b32 v11, 0x8000, v11, v17
	v_cndmask_b32_e64 v18, 0, 1, vcc_lo
	v_lshl_or_b32 v22, v19, 12, v6
	v_lshlrev_b32_e32 v23, v24, v20
	v_cmp_gt_i32_e64 s1, 1, v19
	v_cmp_lt_i32_e32 vcc_lo, 5, v27
	v_or_b32_e32 v18, v26, v18
	v_and_b32_e32 v11, 0xffff, v11
	s_or_b32 vcc_lo, s0, vcc_lo
	s_delay_alu instid0(VALU_DEP_2) | instskip(SKIP_3) | instid1(VALU_DEP_4)
	v_cndmask_b32_e64 v18, v22, v18, s1
	v_cmp_ne_u32_e64 s1, v23, v21
	v_add_nc_u32_e32 v22, 0xfffffc10, v25
	v_add_co_ci_u32_e32 v15, vcc_lo, 0, v15, vcc_lo
	v_and_b32_e32 v23, 7, v18
	s_delay_alu instid0(VALU_DEP_4)
	v_cndmask_b32_e64 v21, 0, 1, s1
	v_cmp_ne_u32_e32 vcc_lo, 0, v1
	v_cmp_gt_i32_e64 s0, 1, v22
	v_lshrrev_b32_e32 v18, 2, v18
	v_cmp_gt_i32_e64 s1, 31, v16
	v_or_b32_e32 v20, v20, v21
	v_lshl_or_b32 v21, v22, 12, v9
	v_cndmask_b32_e64 v1, 0, 1, vcc_lo
	v_cmp_lt_i32_e32 vcc_lo, 5, v23
	v_cndmask_b32_e64 v15, 0x7c00, v15, s1
	v_cmp_eq_u32_e64 s1, 0x40f, v16
	v_cndmask_b32_e64 v17, v21, v20, s0
	v_cmp_eq_u32_e64 s0, 3, v23
	v_lshl_or_b32 v1, v1, 9, 0x7c00
	s_delay_alu instid0(VALU_DEP_3) | instskip(NEXT) | instid1(VALU_DEP_3)
	v_and_b32_e32 v20, 7, v17
	s_or_b32 vcc_lo, s0, vcc_lo
	s_delay_alu instid0(VALU_DEP_2)
	v_cndmask_b32_e64 v1, v15, v1, s1
	v_add_co_ci_u32_e32 v18, vcc_lo, 0, v18, vcc_lo
	v_cmp_ne_u32_e32 vcc_lo, 0, v6
	v_cmp_eq_u32_e64 s0, 3, v20
	v_lshrrev_b32_e32 v15, 2, v17
	v_cmp_gt_i32_e64 s1, 31, v19
	v_and_or_b32 v8, 0x8000, v2, v1
	v_cndmask_b32_e64 v6, 0, 1, vcc_lo
	v_cmp_lt_i32_e32 vcc_lo, 5, v20
	s_delay_alu instid0(VALU_DEP_4) | instskip(NEXT) | instid1(VALU_DEP_3)
	v_cndmask_b32_e64 v16, 0x7c00, v18, s1
	v_lshl_or_b32 v6, v6, 9, 0x7c00
	s_or_b32 vcc_lo, s0, vcc_lo
	v_add_co_ci_u32_e32 v15, vcc_lo, 0, v15, vcc_lo
	v_cmp_ne_u32_e32 vcc_lo, 0, v9
	v_cndmask_b32_e64 v9, 0, 1, vcc_lo
	v_cmp_eq_u32_e32 vcc_lo, 0x40f, v19
	s_delay_alu instid0(VALU_DEP_2) | instskip(SKIP_2) | instid1(VALU_DEP_2)
	v_lshl_or_b32 v9, v9, 9, 0x7c00
	v_cndmask_b32_e32 v6, v16, v6, vcc_lo
	v_cmp_gt_i32_e32 vcc_lo, 31, v22
	v_and_or_b32 v6, 0x8000, v7, v6
	v_cndmask_b32_e32 v15, 0x7c00, v15, vcc_lo
	v_cmp_eq_u32_e32 vcc_lo, 0x40f, v22
	s_delay_alu instid0(VALU_DEP_2) | instskip(SKIP_4) | instid1(VALU_DEP_4)
	v_cndmask_b32_e32 v7, v15, v9, vcc_lo
	v_lshrrev_b32_e32 v9, 16, v10
	v_add_co_u32 v1, vcc_lo, v12, s8
	v_add_co_ci_u32_e32 v2, vcc_lo, s9, v13, vcc_lo
	v_lshl_or_b32 v10, v8, 16, v11
	v_and_or_b32 v8, 0x8000, v9, v7
	v_and_b32_e32 v9, 0xffff, v6
	v_add_co_u32 v6, vcc_lo, v1, s12
	v_add_co_ci_u32_e32 v7, vcc_lo, s7, v2, vcc_lo
	s_delay_alu instid0(VALU_DEP_3) | instskip(NEXT) | instid1(VALU_DEP_3)
	v_lshl_or_b32 v11, v8, 16, v9
	v_add_co_u32 v8, vcc_lo, v6, s12
	s_delay_alu instid0(VALU_DEP_3)
	v_add_co_ci_u32_e32 v9, vcc_lo, s7, v7, vcc_lo
	global_store_b32 v[4:5], v0, off
	global_store_b32 v[12:13], v14, off
	;; [unrolled: 1-line block ×5, first 2 shown]
.LBB0_2:
	s_nop 0
	s_sendmsg sendmsg(MSG_DEALLOC_VGPRS)
	s_endpgm
	.section	.rodata,"a",@progbits
	.p2align	6, 0x0
	.amdhsa_kernel bluestein_single_fwd_len2700_dim1_half_op_CI_CI
		.amdhsa_group_segment_fixed_size 10800
		.amdhsa_private_segment_fixed_size 276
		.amdhsa_kernarg_size 104
		.amdhsa_user_sgpr_count 15
		.amdhsa_user_sgpr_dispatch_ptr 0
		.amdhsa_user_sgpr_queue_ptr 0
		.amdhsa_user_sgpr_kernarg_segment_ptr 1
		.amdhsa_user_sgpr_dispatch_id 0
		.amdhsa_user_sgpr_private_segment_size 0
		.amdhsa_wavefront_size32 1
		.amdhsa_uses_dynamic_stack 0
		.amdhsa_enable_private_segment 1
		.amdhsa_system_sgpr_workgroup_id_x 1
		.amdhsa_system_sgpr_workgroup_id_y 0
		.amdhsa_system_sgpr_workgroup_id_z 0
		.amdhsa_system_sgpr_workgroup_info 0
		.amdhsa_system_vgpr_workitem_id 0
		.amdhsa_next_free_vgpr 256
		.amdhsa_next_free_sgpr 20
		.amdhsa_reserve_vcc 1
		.amdhsa_float_round_mode_32 0
		.amdhsa_float_round_mode_16_64 0
		.amdhsa_float_denorm_mode_32 3
		.amdhsa_float_denorm_mode_16_64 3
		.amdhsa_dx10_clamp 1
		.amdhsa_ieee_mode 1
		.amdhsa_fp16_overflow 0
		.amdhsa_workgroup_processor_mode 1
		.amdhsa_memory_ordered 1
		.amdhsa_forward_progress 0
		.amdhsa_shared_vgpr_count 0
		.amdhsa_exception_fp_ieee_invalid_op 0
		.amdhsa_exception_fp_denorm_src 0
		.amdhsa_exception_fp_ieee_div_zero 0
		.amdhsa_exception_fp_ieee_overflow 0
		.amdhsa_exception_fp_ieee_underflow 0
		.amdhsa_exception_fp_ieee_inexact 0
		.amdhsa_exception_int_div_zero 0
	.end_amdhsa_kernel
	.text
.Lfunc_end0:
	.size	bluestein_single_fwd_len2700_dim1_half_op_CI_CI, .Lfunc_end0-bluestein_single_fwd_len2700_dim1_half_op_CI_CI
                                        ; -- End function
	.section	.AMDGPU.csdata,"",@progbits
; Kernel info:
; codeLenInByte = 59404
; NumSgprs: 22
; NumVgprs: 256
; ScratchSize: 276
; MemoryBound: 0
; FloatMode: 240
; IeeeMode: 1
; LDSByteSize: 10800 bytes/workgroup (compile time only)
; SGPRBlocks: 2
; VGPRBlocks: 31
; NumSGPRsForWavesPerEU: 22
; NumVGPRsForWavesPerEU: 256
; Occupancy: 5
; WaveLimiterHint : 1
; COMPUTE_PGM_RSRC2:SCRATCH_EN: 1
; COMPUTE_PGM_RSRC2:USER_SGPR: 15
; COMPUTE_PGM_RSRC2:TRAP_HANDLER: 0
; COMPUTE_PGM_RSRC2:TGID_X_EN: 1
; COMPUTE_PGM_RSRC2:TGID_Y_EN: 0
; COMPUTE_PGM_RSRC2:TGID_Z_EN: 0
; COMPUTE_PGM_RSRC2:TIDIG_COMP_CNT: 0
	.text
	.p2alignl 7, 3214868480
	.fill 96, 4, 3214868480
	.type	__hip_cuid_115566b03c33bcbe,@object ; @__hip_cuid_115566b03c33bcbe
	.section	.bss,"aw",@nobits
	.globl	__hip_cuid_115566b03c33bcbe
__hip_cuid_115566b03c33bcbe:
	.byte	0                               ; 0x0
	.size	__hip_cuid_115566b03c33bcbe, 1

	.ident	"AMD clang version 19.0.0git (https://github.com/RadeonOpenCompute/llvm-project roc-6.4.0 25133 c7fe45cf4b819c5991fe208aaa96edf142730f1d)"
	.section	".note.GNU-stack","",@progbits
	.addrsig
	.addrsig_sym __hip_cuid_115566b03c33bcbe
	.amdgpu_metadata
---
amdhsa.kernels:
  - .args:
      - .actual_access:  read_only
        .address_space:  global
        .offset:         0
        .size:           8
        .value_kind:     global_buffer
      - .actual_access:  read_only
        .address_space:  global
        .offset:         8
        .size:           8
        .value_kind:     global_buffer
      - .actual_access:  read_only
        .address_space:  global
        .offset:         16
        .size:           8
        .value_kind:     global_buffer
      - .actual_access:  read_only
        .address_space:  global
        .offset:         24
        .size:           8
        .value_kind:     global_buffer
      - .actual_access:  read_only
        .address_space:  global
        .offset:         32
        .size:           8
        .value_kind:     global_buffer
      - .offset:         40
        .size:           8
        .value_kind:     by_value
      - .address_space:  global
        .offset:         48
        .size:           8
        .value_kind:     global_buffer
      - .address_space:  global
        .offset:         56
        .size:           8
        .value_kind:     global_buffer
      - .address_space:  global
        .offset:         64
        .size:           8
        .value_kind:     global_buffer
      - .address_space:  global
        .offset:         72
        .size:           8
        .value_kind:     global_buffer
      - .offset:         80
        .size:           4
        .value_kind:     by_value
      - .address_space:  global
        .offset:         88
        .size:           8
        .value_kind:     global_buffer
      - .address_space:  global
        .offset:         96
        .size:           8
        .value_kind:     global_buffer
    .group_segment_fixed_size: 10800
    .kernarg_segment_align: 8
    .kernarg_segment_size: 104
    .language:       OpenCL C
    .language_version:
      - 2
      - 0
    .max_flat_workgroup_size: 90
    .name:           bluestein_single_fwd_len2700_dim1_half_op_CI_CI
    .private_segment_fixed_size: 276
    .sgpr_count:     22
    .sgpr_spill_count: 0
    .symbol:         bluestein_single_fwd_len2700_dim1_half_op_CI_CI.kd
    .uniform_work_group_size: 1
    .uses_dynamic_stack: false
    .vgpr_count:     256
    .vgpr_spill_count: 68
    .wavefront_size: 32
    .workgroup_processor_mode: 1
amdhsa.target:   amdgcn-amd-amdhsa--gfx1100
amdhsa.version:
  - 1
  - 2
...

	.end_amdgpu_metadata
